;; amdgpu-corpus repo=ROCm/rocFFT kind=compiled arch=gfx1030 opt=O3
	.text
	.amdgcn_target "amdgcn-amd-amdhsa--gfx1030"
	.amdhsa_code_object_version 6
	.protected	bluestein_single_back_len273_dim1_half_op_CI_CI ; -- Begin function bluestein_single_back_len273_dim1_half_op_CI_CI
	.globl	bluestein_single_back_len273_dim1_half_op_CI_CI
	.p2align	8
	.type	bluestein_single_back_len273_dim1_half_op_CI_CI,@function
bluestein_single_back_len273_dim1_half_op_CI_CI: ; @bluestein_single_back_len273_dim1_half_op_CI_CI
; %bb.0:
	s_load_dwordx4 s[8:11], s[4:5], 0x28
	v_mul_u32_u24_e32 v1, 0x13b2, v0
	v_mov_b32_e32 v15, 0
	s_mov_b32 s0, exec_lo
	v_lshrrev_b32_e32 v4, 16, v1
	v_lshl_add_u32 v14, s6, 2, v4
	s_waitcnt lgkmcnt(0)
	v_cmpx_gt_u64_e64 s[8:9], v[14:15]
	s_cbranch_execz .LBB0_15
; %bb.1:
	s_clause 0x1
	s_load_dwordx4 s[0:3], s[4:5], 0x18
	s_load_dwordx2 s[16:17], s[4:5], 0x0
	v_mul_lo_u16 v1, v4, 13
	v_sub_nc_u16 v8, v0, v1
	v_and_b32_e32 v69, 0xffff, v8
	v_lshlrev_b32_e32 v45, 2, v69
	v_or_b32_e32 v58, 0xa0, v69
	s_waitcnt lgkmcnt(0)
	s_load_dwordx4 s[12:15], s[0:1], 0x0
	global_load_dword v72, v45, s[16:17]
	s_waitcnt lgkmcnt(0)
	v_mad_u64_u32 v[0:1], null, s14, v14, 0
	v_mad_u64_u32 v[2:3], null, s12, v69, 0
	s_mul_i32 s1, s13, 21
	s_mul_hi_u32 s6, s12, 21
	s_mul_i32 s0, s12, 21
	s_add_i32 s1, s6, s1
	s_load_dwordx2 s[6:7], s[4:5], 0x38
	v_mad_u64_u32 v[5:6], null, s15, v14, v[1:2]
	v_mad_u64_u32 v[6:7], null, s13, v69, v[3:4]
	s_lshl_b64 s[14:15], s[0:1], 2
	v_and_b32_e32 v4, 3, v4
	v_add_co_u32 v12, s0, s16, v45
	v_mov_b32_e32 v1, v5
	v_add_co_ci_u32_e64 v13, null, s17, 0, s0
	v_mov_b32_e32 v3, v6
	v_mul_u32_u24_e32 v39, 0x111, v4
	v_lshlrev_b64 v[0:1], 2, v[0:1]
	v_lshlrev_b64 v[5:6], 2, v[2:3]
	v_lshlrev_b32_e32 v73, 2, v39
	v_add_co_u32 v2, vcc_lo, s10, v0
	v_add_co_ci_u32_e32 v3, vcc_lo, s11, v1, vcc_lo
	v_add_nc_u32_e32 v57, v73, v45
	v_add_co_u32 v0, vcc_lo, v2, v5
	v_add_co_ci_u32_e32 v1, vcc_lo, v3, v6, vcc_lo
	v_add_co_u32 v5, vcc_lo, v0, s14
	v_add_co_ci_u32_e32 v6, vcc_lo, s15, v1, vcc_lo
	s_clause 0x1
	global_load_dword v7, v[0:1], off
	global_load_dword v9, v[5:6], off
	v_add_co_u32 v0, vcc_lo, v5, s14
	v_add_co_ci_u32_e32 v1, vcc_lo, s15, v6, vcc_lo
	v_add_co_u32 v5, vcc_lo, v0, s14
	v_add_co_ci_u32_e32 v6, vcc_lo, s15, v1, vcc_lo
	s_clause 0x1
	global_load_dword v71, v45, s[16:17] offset:84
	global_load_dword v70, v45, s[16:17] offset:168
	s_clause 0x1
	global_load_dword v10, v[0:1], off
	global_load_dword v11, v[5:6], off
	v_add_co_u32 v0, vcc_lo, v5, s14
	v_add_co_ci_u32_e32 v1, vcc_lo, s15, v6, vcc_lo
	s_clause 0x2
	global_load_dword v68, v45, s[16:17] offset:252
	global_load_dword v67, v45, s[16:17] offset:336
	;; [unrolled: 1-line block ×3, first 2 shown]
	v_add_co_u32 v5, vcc_lo, v0, s14
	v_add_co_ci_u32_e32 v6, vcc_lo, s15, v1, vcc_lo
	global_load_dword v15, v[0:1], off
	v_add_co_u32 v0, vcc_lo, v5, s14
	v_add_co_ci_u32_e32 v1, vcc_lo, s15, v6, vcc_lo
	global_load_dword v16, v[5:6], off
	v_add_co_u32 v5, vcc_lo, v0, s14
	v_add_co_ci_u32_e32 v6, vcc_lo, s15, v1, vcc_lo
	s_clause 0x1
	global_load_dword v65, v45, s[16:17] offset:504
	global_load_dword v64, v45, s[16:17] offset:588
	global_load_dword v17, v[0:1], off
	global_load_dword v18, v[5:6], off
	v_add_co_u32 v0, vcc_lo, v5, s14
	v_add_co_ci_u32_e32 v1, vcc_lo, s15, v6, vcc_lo
	s_clause 0x1
	global_load_dword v63, v45, s[16:17] offset:672
	global_load_dword v62, v45, s[16:17] offset:756
	v_add_co_u32 v5, vcc_lo, v0, s14
	v_add_co_ci_u32_e32 v6, vcc_lo, s15, v1, vcc_lo
	global_load_dword v19, v[0:1], off
	v_add_co_u32 v0, vcc_lo, v5, s14
	v_add_co_ci_u32_e32 v1, vcc_lo, s15, v6, vcc_lo
	global_load_dword v20, v[5:6], off
	;; [unrolled: 3-line block ×3, first 2 shown]
	v_add_co_u32 v0, vcc_lo, v5, s14
	v_add_co_ci_u32_e32 v1, vcc_lo, s15, v6, vcc_lo
	global_load_dword v61, v45, s[16:17] offset:840
	global_load_dword v5, v[5:6], off
	global_load_dword v6, v[0:1], off
	s_clause 0x1
	global_load_dword v60, v45, s[16:17] offset:924
	global_load_dword v59, v45, s[16:17] offset:1008
	s_load_dwordx4 s[8:11], s[2:3], 0x0
	v_cmp_gt_u16_e32 vcc_lo, 8, v8
	s_waitcnt vmcnt(24)
	v_lshrrev_b32_e32 v4, 16, v7
	v_mul_f16_sdwa v22, v72, v7 dst_sel:DWORD dst_unused:UNUSED_PAD src0_sel:WORD_1 src1_sel:DWORD
	s_waitcnt vmcnt(23)
	v_lshrrev_b32_e32 v24, 16, v9
	v_mul_f16_sdwa v23, v72, v4 dst_sel:DWORD dst_unused:UNUSED_PAD src0_sel:WORD_1 src1_sel:DWORD
	v_fma_f16 v4, v72, v4, -v22
	s_waitcnt vmcnt(22)
	v_mul_f16_sdwa v25, v71, v9 dst_sel:DWORD dst_unused:UNUSED_PAD src0_sel:WORD_1 src1_sel:DWORD
	v_fmac_f16_e32 v23, v72, v7
	v_mul_f16_sdwa v7, v71, v24 dst_sel:DWORD dst_unused:UNUSED_PAD src0_sel:WORD_1 src1_sel:DWORD
	s_waitcnt vmcnt(20)
	v_lshrrev_b32_e32 v22, 16, v10
	v_fma_f16 v24, v71, v24, -v25
	v_mul_f16_sdwa v25, v70, v10 dst_sel:DWORD dst_unused:UNUSED_PAD src0_sel:WORD_1 src1_sel:DWORD
	v_pack_b32_f16 v4, v23, v4
	v_fmac_f16_e32 v7, v71, v9
	v_mul_f16_sdwa v9, v70, v22 dst_sel:DWORD dst_unused:UNUSED_PAD src0_sel:WORD_1 src1_sel:DWORD
	s_waitcnt vmcnt(19)
	v_lshrrev_b32_e32 v23, 16, v11
	s_waitcnt vmcnt(18)
	v_mul_f16_sdwa v26, v68, v11 dst_sel:DWORD dst_unused:UNUSED_PAD src0_sel:WORD_1 src1_sel:DWORD
	v_fma_f16 v22, v70, v22, -v25
	v_pack_b32_f16 v7, v7, v24
	v_fmac_f16_e32 v9, v70, v10
	v_mul_f16_sdwa v10, v68, v23 dst_sel:DWORD dst_unused:UNUSED_PAD src0_sel:WORD_1 src1_sel:DWORD
	s_waitcnt vmcnt(15)
	v_lshrrev_b32_e32 v24, 16, v15
	v_fma_f16 v23, v68, v23, -v26
	v_mul_f16_sdwa v25, v67, v15 dst_sel:DWORD dst_unused:UNUSED_PAD src0_sel:WORD_1 src1_sel:DWORD
	ds_write2_b32 v57, v4, v7 offset1:21
	v_pack_b32_f16 v4, v9, v22
	v_fmac_f16_e32 v10, v68, v11
	v_mul_f16_sdwa v7, v67, v24 dst_sel:DWORD dst_unused:UNUSED_PAD src0_sel:WORD_1 src1_sel:DWORD
	s_waitcnt vmcnt(14)
	v_lshrrev_b32_e32 v9, 16, v16
	v_mul_f16_sdwa v11, v66, v16 dst_sel:DWORD dst_unused:UNUSED_PAD src0_sel:WORD_1 src1_sel:DWORD
	v_fma_f16 v22, v67, v24, -v25
	v_pack_b32_f16 v10, v10, v23
	v_fmac_f16_e32 v7, v67, v15
	v_mul_f16_sdwa v15, v66, v9 dst_sel:DWORD dst_unused:UNUSED_PAD src0_sel:WORD_1 src1_sel:DWORD
	v_fma_f16 v9, v66, v9, -v11
	s_waitcnt vmcnt(11)
	v_lshrrev_b32_e32 v11, 16, v17
	v_mul_f16_sdwa v23, v65, v17 dst_sel:DWORD dst_unused:UNUSED_PAD src0_sel:WORD_1 src1_sel:DWORD
	ds_write2_b32 v57, v4, v10 offset0:42 offset1:63
	v_pack_b32_f16 v4, v7, v22
	v_fmac_f16_e32 v15, v66, v16
	v_mul_f16_sdwa v7, v65, v11 dst_sel:DWORD dst_unused:UNUSED_PAD src0_sel:WORD_1 src1_sel:DWORD
	s_waitcnt vmcnt(10)
	v_lshrrev_b32_e32 v10, 16, v18
	v_mul_f16_sdwa v16, v64, v18 dst_sel:DWORD dst_unused:UNUSED_PAD src0_sel:WORD_1 src1_sel:DWORD
	v_fma_f16 v11, v65, v11, -v23
	v_pack_b32_f16 v9, v15, v9
	v_fmac_f16_e32 v7, v65, v17
	v_mul_f16_sdwa v15, v64, v10 dst_sel:DWORD dst_unused:UNUSED_PAD src0_sel:WORD_1 src1_sel:DWORD
	v_fma_f16 v10, v64, v10, -v16
	s_waitcnt vmcnt(7)
	v_lshrrev_b32_e32 v16, 16, v19
	v_mul_f16_sdwa v17, v63, v19 dst_sel:DWORD dst_unused:UNUSED_PAD src0_sel:WORD_1 src1_sel:DWORD
	ds_write2_b32 v57, v4, v9 offset0:84 offset1:105
	v_pack_b32_f16 v4, v7, v11
	v_fmac_f16_e32 v15, v64, v18
	s_waitcnt vmcnt(6)
	v_lshrrev_b32_e32 v7, 16, v20
	v_mul_f16_sdwa v9, v63, v16 dst_sel:DWORD dst_unused:UNUSED_PAD src0_sel:WORD_1 src1_sel:DWORD
	v_fma_f16 v11, v63, v16, -v17
	v_mul_f16_sdwa v16, v62, v20 dst_sel:DWORD dst_unused:UNUSED_PAD src0_sel:WORD_1 src1_sel:DWORD
	v_pack_b32_f16 v10, v15, v10
	v_mul_f16_sdwa v15, v62, v7 dst_sel:DWORD dst_unused:UNUSED_PAD src0_sel:WORD_1 src1_sel:DWORD
	s_waitcnt vmcnt(5)
	v_lshrrev_b32_e32 v17, 16, v21
	s_waitcnt vmcnt(3)
	v_lshrrev_b32_e32 v18, 16, v5
	v_fma_f16 v7, v62, v7, -v16
	v_mul_f16_sdwa v16, v61, v21 dst_sel:DWORD dst_unused:UNUSED_PAD src0_sel:WORD_1 src1_sel:DWORD
	v_fmac_f16_e32 v15, v62, v20
	s_waitcnt vmcnt(2)
	v_lshrrev_b32_e32 v20, 16, v6
	v_fmac_f16_e32 v9, v63, v19
	v_mul_f16_sdwa v19, v61, v17 dst_sel:DWORD dst_unused:UNUSED_PAD src0_sel:WORD_1 src1_sel:DWORD
	v_fma_f16 v16, v61, v17, -v16
	s_waitcnt vmcnt(1)
	v_mul_f16_sdwa v17, v60, v5 dst_sel:DWORD dst_unused:UNUSED_PAD src0_sel:WORD_1 src1_sel:DWORD
	v_mul_f16_sdwa v22, v60, v18 dst_sel:DWORD dst_unused:UNUSED_PAD src0_sel:WORD_1 src1_sel:DWORD
	s_waitcnt vmcnt(0)
	v_mul_f16_sdwa v23, v59, v6 dst_sel:DWORD dst_unused:UNUSED_PAD src0_sel:WORD_1 src1_sel:DWORD
	v_mul_f16_sdwa v24, v59, v20 dst_sel:DWORD dst_unused:UNUSED_PAD src0_sel:WORD_1 src1_sel:DWORD
	v_fmac_f16_e32 v19, v61, v21
	v_fma_f16 v17, v60, v18, -v17
	v_fmac_f16_e32 v22, v60, v5
	v_fma_f16 v5, v59, v20, -v23
	v_fmac_f16_e32 v24, v59, v6
	v_pack_b32_f16 v6, v9, v11
	v_pack_b32_f16 v7, v15, v7
	;; [unrolled: 1-line block ×5, first 2 shown]
	ds_write2_b32 v57, v4, v10 offset0:126 offset1:147
	ds_write2_b32 v57, v6, v7 offset0:168 offset1:189
	;; [unrolled: 1-line block ×3, first 2 shown]
	ds_write_b32 v57, v5 offset:1008
	s_and_saveexec_b32 s1, vcc_lo
	s_cbranch_execz .LBB0_3
; %bb.2:
	v_mad_u64_u32 v[0:1], null, 0xfffffc44, s12, v[0:1]
	s_mul_i32 s0, s13, 0xfffffc44
	v_mad_u64_u32 v[4:5], null, s12, v58, 0
	s_sub_i32 s0, s0, s12
	v_add_nc_u32_e32 v1, s0, v1
	v_add_co_u32 v6, s0, v0, s14
	v_add_co_ci_u32_e64 v7, s0, s15, v1, s0
	v_add_co_u32 v8, s0, v6, s14
	v_add_co_ci_u32_e64 v9, s0, s15, v7, s0
	s_clause 0x1
	global_load_dword v15, v[12:13], off offset:52
	global_load_dword v16, v[12:13], off offset:136
	global_load_dword v17, v[0:1], off
	global_load_dword v18, v[6:7], off
	;; [unrolled: 1-line block ×3, first 2 shown]
	v_add_co_u32 v0, s0, v8, s14
	v_add_co_ci_u32_e64 v1, s0, s15, v9, s0
	v_mad_u64_u32 v[5:6], null, s13, v58, v[5:6]
	v_add_co_u32 v6, s0, v0, s14
	v_add_co_ci_u32_e64 v7, s0, s15, v1, s0
	global_load_dword v20, v[0:1], off
	v_add_co_u32 v0, s0, v6, s14
	v_add_co_ci_u32_e64 v1, s0, s15, v7, s0
	v_lshlrev_b64 v[4:5], 2, v[4:5]
	v_add_co_u32 v8, s0, v0, s14
	v_add_co_ci_u32_e64 v9, s0, s15, v1, s0
	s_clause 0x1
	global_load_dword v21, v[12:13], off offset:220
	global_load_dword v22, v[12:13], off offset:304
	v_add_co_u32 v2, s0, v2, v4
	v_mad_u64_u32 v[10:11], null, 0xa8, s12, v[8:9]
	v_add_co_ci_u32_e64 v3, s0, v3, v5, s0
	global_load_dword v6, v[6:7], off
	global_load_dword v7, v[12:13], off offset:388
	global_load_dword v23, v[2:3], off
	global_load_dword v24, v[12:13], off offset:640
	global_load_dword v25, v[0:1], off
	s_clause 0x1
	global_load_dword v26, v[12:13], off offset:472
	global_load_dword v27, v[12:13], off offset:556
	global_load_dword v8, v[8:9], off
	v_mov_b32_e32 v2, v11
	v_add_co_u32 v0, s0, v10, s14
	s_clause 0x1
	global_load_dword v9, v[12:13], off offset:724
	global_load_dword v28, v[12:13], off offset:808
	v_mad_u64_u32 v[2:3], null, 0xa8, s13, v[2:3]
	v_mov_b32_e32 v11, v2
	v_add_co_ci_u32_e64 v1, s0, s15, v11, s0
	v_add_co_u32 v2, s0, v0, s14
	global_load_dword v10, v[10:11], off
	global_load_dword v11, v[0:1], off
	v_add_co_ci_u32_e64 v3, s0, s15, v1, s0
	v_add_co_u32 v0, s0, v2, s14
	v_add_co_ci_u32_e64 v1, s0, s15, v3, s0
	v_add_co_u32 v4, s0, v0, s14
	v_add_co_ci_u32_e64 v5, s0, s15, v1, s0
	global_load_dword v2, v[2:3], off
	global_load_dword v3, v[12:13], off offset:892
	global_load_dword v0, v[0:1], off
	global_load_dword v1, v[4:5], off
	s_clause 0x1
	global_load_dword v4, v[12:13], off offset:976
	global_load_dword v5, v[12:13], off offset:1060
	s_waitcnt vmcnt(23)
	v_lshrrev_b32_e32 v29, 16, v17
	v_mul_f16_sdwa v30, v15, v17 dst_sel:DWORD dst_unused:UNUSED_PAD src0_sel:WORD_1 src1_sel:DWORD
	s_waitcnt vmcnt(22)
	v_lshrrev_b32_e32 v32, 16, v18
	v_mul_f16_sdwa v33, v16, v18 dst_sel:DWORD dst_unused:UNUSED_PAD src0_sel:WORD_1 src1_sel:DWORD
	v_mul_f16_sdwa v31, v15, v29 dst_sel:DWORD dst_unused:UNUSED_PAD src0_sel:WORD_1 src1_sel:DWORD
	v_fma_f16 v29, v15, v29, -v30
	v_fma_f16 v30, v16, v32, -v33
	v_fmac_f16_e32 v31, v15, v17
	v_mul_f16_sdwa v15, v16, v32 dst_sel:DWORD dst_unused:UNUSED_PAD src0_sel:WORD_1 src1_sel:DWORD
	s_waitcnt vmcnt(21)
	v_lshrrev_b32_e32 v17, 16, v19
	v_pack_b32_f16 v29, v31, v29
	v_fmac_f16_e32 v15, v16, v18
	s_waitcnt vmcnt(20)
	v_lshrrev_b32_e32 v18, 16, v20
	v_pack_b32_f16 v15, v15, v30
	s_waitcnt vmcnt(19)
	v_mul_f16_sdwa v32, v21, v19 dst_sel:DWORD dst_unused:UNUSED_PAD src0_sel:WORD_1 src1_sel:DWORD
	v_mul_f16_sdwa v16, v21, v17 dst_sel:DWORD dst_unused:UNUSED_PAD src0_sel:WORD_1 src1_sel:DWORD
	s_waitcnt vmcnt(18)
	v_mul_f16_sdwa v31, v22, v20 dst_sel:DWORD dst_unused:UNUSED_PAD src0_sel:WORD_1 src1_sel:DWORD
	ds_write2_b32 v57, v29, v15 offset0:13 offset1:34
	v_fma_f16 v17, v21, v17, -v32
	v_fmac_f16_e32 v16, v21, v19
	v_mul_f16_sdwa v19, v22, v18 dst_sel:DWORD dst_unused:UNUSED_PAD src0_sel:WORD_1 src1_sel:DWORD
	s_waitcnt vmcnt(17)
	v_lshrrev_b32_e32 v21, 16, v6
	v_fma_f16 v18, v22, v18, -v31
	s_waitcnt vmcnt(16)
	v_mul_f16_sdwa v30, v7, v6 dst_sel:DWORD dst_unused:UNUSED_PAD src0_sel:WORD_1 src1_sel:DWORD
	v_pack_b32_f16 v15, v16, v17
	v_fmac_f16_e32 v19, v22, v20
	v_mul_f16_sdwa v16, v7, v21 dst_sel:DWORD dst_unused:UNUSED_PAD src0_sel:WORD_1 src1_sel:DWORD
	s_waitcnt vmcnt(13)
	v_lshrrev_b32_e32 v20, 16, v25
	v_fma_f16 v17, v7, v21, -v30
	s_waitcnt vmcnt(12)
	v_mul_f16_sdwa v21, v26, v25 dst_sel:DWORD dst_unused:UNUSED_PAD src0_sel:WORD_1 src1_sel:DWORD
	v_pack_b32_f16 v18, v19, v18
	v_fmac_f16_e32 v16, v7, v6
	s_waitcnt vmcnt(10)
	v_lshrrev_b32_e32 v19, 16, v8
	v_mul_f16_sdwa v6, v26, v20 dst_sel:DWORD dst_unused:UNUSED_PAD src0_sel:WORD_1 src1_sel:DWORD
	v_fma_f16 v7, v26, v20, -v21
	v_mul_f16_sdwa v20, v27, v8 dst_sel:DWORD dst_unused:UNUSED_PAD src0_sel:WORD_1 src1_sel:DWORD
	ds_write2_b32 v57, v15, v18 offset0:55 offset1:76
	v_pack_b32_f16 v15, v16, v17
	v_mul_f16_sdwa v16, v27, v19 dst_sel:DWORD dst_unused:UNUSED_PAD src0_sel:WORD_1 src1_sel:DWORD
	v_lshrrev_b32_e32 v31, 16, v23
	v_fmac_f16_e32 v6, v26, v25
	v_fma_f16 v17, v27, v19, -v20
	v_mul_f16_sdwa v32, v24, v23 dst_sel:DWORD dst_unused:UNUSED_PAD src0_sel:WORD_1 src1_sel:DWORD
	v_fmac_f16_e32 v16, v27, v8
	v_mul_f16_sdwa v22, v24, v31 dst_sel:DWORD dst_unused:UNUSED_PAD src0_sel:WORD_1 src1_sel:DWORD
	v_pack_b32_f16 v6, v6, v7
	s_waitcnt vmcnt(7)
	v_lshrrev_b32_e32 v19, 16, v10
	s_waitcnt vmcnt(6)
	v_lshrrev_b32_e32 v8, 16, v11
	v_mul_f16_sdwa v7, v9, v10 dst_sel:DWORD dst_unused:UNUSED_PAD src0_sel:WORD_1 src1_sel:DWORD
	v_pack_b32_f16 v16, v16, v17
	v_fma_f16 v29, v24, v31, -v32
	v_mul_f16_sdwa v20, v9, v19 dst_sel:DWORD dst_unused:UNUSED_PAD src0_sel:WORD_1 src1_sel:DWORD
	v_mul_f16_sdwa v17, v28, v8 dst_sel:DWORD dst_unused:UNUSED_PAD src0_sel:WORD_1 src1_sel:DWORD
	v_fmac_f16_e32 v22, v24, v23
	v_mul_f16_sdwa v21, v28, v11 dst_sel:DWORD dst_unused:UNUSED_PAD src0_sel:WORD_1 src1_sel:DWORD
	v_fma_f16 v7, v9, v19, -v7
	v_fmac_f16_e32 v20, v9, v10
	s_waitcnt vmcnt(5)
	v_lshrrev_b32_e32 v9, 16, v2
	s_waitcnt vmcnt(4)
	v_mul_f16_sdwa v10, v3, v2 dst_sel:DWORD dst_unused:UNUSED_PAD src0_sel:WORD_1 src1_sel:DWORD
	v_fmac_f16_e32 v17, v28, v11
	s_waitcnt vmcnt(3)
	v_lshrrev_b32_e32 v11, 16, v0
	s_waitcnt vmcnt(2)
	v_lshrrev_b32_e32 v19, 16, v1
	v_pack_b32_f16 v18, v22, v29
	v_fma_f16 v8, v28, v8, -v21
	v_mul_f16_sdwa v21, v3, v9 dst_sel:DWORD dst_unused:UNUSED_PAD src0_sel:WORD_1 src1_sel:DWORD
	v_fma_f16 v9, v3, v9, -v10
	s_waitcnt vmcnt(1)
	v_mul_f16_sdwa v10, v4, v0 dst_sel:DWORD dst_unused:UNUSED_PAD src0_sel:WORD_1 src1_sel:DWORD
	v_mul_f16_sdwa v22, v4, v11 dst_sel:DWORD dst_unused:UNUSED_PAD src0_sel:WORD_1 src1_sel:DWORD
	s_waitcnt vmcnt(0)
	v_mul_f16_sdwa v23, v5, v19 dst_sel:DWORD dst_unused:UNUSED_PAD src0_sel:WORD_1 src1_sel:DWORD
	v_mul_f16_sdwa v24, v5, v1 dst_sel:DWORD dst_unused:UNUSED_PAD src0_sel:WORD_1 src1_sel:DWORD
	v_fmac_f16_e32 v21, v3, v2
	v_fma_f16 v2, v4, v11, -v10
	v_fmac_f16_e32 v22, v4, v0
	v_fmac_f16_e32 v23, v5, v1
	v_fma_f16 v0, v5, v19, -v24
	v_pack_b32_f16 v1, v20, v7
	v_pack_b32_f16 v3, v17, v8
	v_pack_b32_f16 v4, v21, v9
	v_pack_b32_f16 v2, v22, v2
	v_pack_b32_f16 v0, v23, v0
	ds_write2_b32 v57, v15, v6 offset0:97 offset1:118
	ds_write2_b32 v57, v16, v18 offset0:139 offset1:160
	;; [unrolled: 1-line block ×4, first 2 shown]
	ds_write_b32 v57, v0 offset:1060
.LBB0_3:
	s_or_b32 exec_lo, exec_lo, s1
	s_waitcnt lgkmcnt(0)
	s_barrier
	buffer_gl0_inv
	ds_read2_b32 v[17:18], v57 offset1:21
	ds_read2_b32 v[23:24], v57 offset0:42 offset1:63
	ds_read2_b32 v[27:28], v57 offset0:84 offset1:105
	;; [unrolled: 1-line block ×5, first 2 shown]
	ds_read_b32 v81, v57 offset:1008
	s_load_dwordx2 s[0:1], s[4:5], 0x8
	v_mov_b32_e32 v6, 0
                                        ; implicit-def: $vgpr29
                                        ; implicit-def: $vgpr1
                                        ; implicit-def: $vgpr3
                                        ; implicit-def: $vgpr5
                                        ; implicit-def: $vgpr9
                                        ; implicit-def: $vgpr11
	s_and_saveexec_b32 s2, vcc_lo
	s_cbranch_execz .LBB0_5
; %bb.4:
	ds_read2_b32 v[6:7], v57 offset0:13 offset1:34
	ds_read2_b32 v[10:11], v57 offset0:55 offset1:76
	;; [unrolled: 1-line block ×6, first 2 shown]
	ds_read_b32 v29, v57 offset:1060
.LBB0_5:
	s_or_b32 exec_lo, exec_lo, s2
	s_waitcnt lgkmcnt(0)
	v_pk_add_f16 v30, v7, v29 neg_lo:[0,1] neg_hi:[0,1]
	v_mov_b32_e32 v77, 0xbbf1
	v_mov_b32_e32 v53, 0xbb7b
	v_pk_add_f16 v44, v17, v18
	v_pk_add_f16 v31, v29, v7
	v_pk_add_f16 v33, v10, v1 neg_lo:[0,1] neg_hi:[0,1]
	v_mul_f16_sdwa v40, v30, v77 dst_sel:DWORD dst_unused:UNUSED_PAD src0_sel:WORD_1 src1_sel:DWORD
	v_mul_f16_sdwa v42, v30, v53 dst_sel:DWORD dst_unused:UNUSED_PAD src0_sel:WORD_1 src1_sel:DWORD
	v_mov_b32_e32 v74, 0xb3a8
	v_mov_b32_e32 v87, 0x394e
	v_pk_add_f16 v44, v44, v23
	v_pk_add_f16 v32, v1, v10
	v_fmamk_f16 v15, v31, 0x2fb7, v40
	v_fmamk_f16 v16, v31, 0xb5ac, v42
	v_pk_add_f16 v34, v11, v0 neg_lo:[0,1] neg_hi:[0,1]
	v_mul_f16_sdwa v43, v33, v74 dst_sel:DWORD dst_unused:UNUSED_PAD src0_sel:WORD_1 src1_sel:DWORD
	v_mov_b32_e32 v88, 0x3b7b
	v_mul_f16_sdwa v49, v33, v87 dst_sel:DWORD dst_unused:UNUSED_PAD src0_sel:WORD_1 src1_sel:DWORD
	v_mov_b32_e32 v76, 0x3770
	v_pk_add_f16 v44, v44, v24
	v_add_f16_e32 v15, v15, v6
	v_add_f16_e32 v16, v16, v6
	v_fmamk_f16 v35, v32, 0xbbc4, v43
	v_pk_add_f16 v37, v0, v11
	v_mul_f16_sdwa v46, v34, v88 dst_sel:DWORD dst_unused:UNUSED_PAD src0_sel:WORD_1 src1_sel:DWORD
	v_fmamk_f16 v36, v32, 0xb9fd, v49
	v_mul_f16_sdwa v50, v34, v76 dst_sel:DWORD dst_unused:UNUSED_PAD src0_sel:WORD_1 src1_sel:DWORD
	v_pk_add_f16 v75, v44, v27
	v_add_f16_e32 v15, v35, v15
	v_fmamk_f16 v35, v37, 0xb5ac, v46
	v_add_f16_e32 v16, v36, v16
	v_pk_add_f16 v36, v8, v3 neg_lo:[0,1] neg_hi:[0,1]
	v_fmamk_f16 v38, v37, 0x3b15, v50
	v_pk_add_f16 v75, v75, v28
	v_add_f16_e32 v15, v35, v15
	v_pk_add_f16 v35, v3, v8
	v_mul_f16_sdwa v48, v36, v76 dst_sel:DWORD dst_unused:UNUSED_PAD src0_sel:WORD_1 src1_sel:DWORD
	v_add_f16_e32 v16, v38, v16
	v_pk_add_f16 v38, v9, v2 neg_lo:[0,1] neg_hi:[0,1]
	v_mul_f16_sdwa v54, v36, v77 dst_sel:DWORD dst_unused:UNUSED_PAD src0_sel:WORD_1 src1_sel:DWORD
	v_mov_b32_e32 v79, 0x33a8
	v_pk_add_f16 v75, v75, v21
	v_mov_b32_e32 v78, 0xba95
	v_fmamk_f16 v47, v35, 0x3b15, v48
	v_pk_add_f16 v41, v2, v9
	v_fmamk_f16 v52, v35, 0x2fb7, v54
	v_mul_f16_sdwa v56, v38, v79 dst_sel:DWORD dst_unused:UNUSED_PAD src0_sel:WORD_1 src1_sel:DWORD
	v_pk_add_f16 v75, v75, v22
	v_mov_b32_e32 v89, 0xb770
	v_pk_add_f16 v97, v18, v81 neg_lo:[0,1] neg_hi:[0,1]
	v_mul_f16_sdwa v51, v38, v78 dst_sel:DWORD dst_unused:UNUSED_PAD src0_sel:WORD_1 src1_sel:DWORD
	v_add_f16_e32 v15, v47, v15
	v_mov_b32_e32 v80, 0xb94e
	v_pk_add_f16 v47, v4, v5 neg_lo:[0,1] neg_hi:[0,1]
	v_add_f16_e32 v16, v52, v16
	v_fmamk_f16 v82, v41, 0xbbc4, v56
	v_pk_add_f16 v75, v75, v25
	v_pk_add_f16 v99, v81, v18
	v_mul_f16_sdwa v100, v97, v89 dst_sel:DWORD dst_unused:UNUSED_PAD src0_sel:WORD_1 src1_sel:DWORD
	v_pk_add_f16 v101, v23, v20 neg_lo:[0,1] neg_hi:[0,1]
	v_fmamk_f16 v55, v41, 0x388b, v51
	v_pk_add_f16 v44, v5, v4
	v_mul_f16_sdwa v52, v47, v80 dst_sel:DWORD dst_unused:UNUSED_PAD src0_sel:WORD_1 src1_sel:DWORD
	v_add_f16_e32 v95, v82, v16
	v_pk_add_f16 v82, v26, v27
	v_pk_add_f16 v96, v27, v26 neg_lo:[0,1] neg_hi:[0,1]
	v_pk_add_f16 v27, v25, v28
	v_pk_add_f16 v98, v28, v25 neg_lo:[0,1] neg_hi:[0,1]
	v_pk_add_f16 v26, v75, v26
	v_pk_add_f16 v25, v20, v23
	v_fma_f16 v28, v99, 0x3b15, -v100
	v_mul_f16_sdwa v23, v101, v78 dst_sel:DWORD dst_unused:UNUSED_PAD src0_sel:WORD_1 src1_sel:DWORD
	v_pk_mul_f16 v75, 0x3b15388b, v99
	v_add_f16_e32 v15, v55, v15
	v_fmamk_f16 v83, v44, 0xb9fd, v52
	v_pk_add_f16 v18, v19, v24
	v_pk_add_f16 v102, v24, v19 neg_lo:[0,1] neg_hi:[0,1]
	v_pk_add_f16 v103, v26, v19
	v_add_f16_e32 v19, v17, v28
	v_fma_f16 v24, v25, 0x388b, -v23
	v_pk_fma_f16 v104, 0xba95b770, v97, v75 op_sel:[0,0,1] op_sel_hi:[1,1,0] neg_lo:[0,1,0] neg_hi:[0,1,0]
	v_pk_mul_f16 v26, 0x388bb5ac, v25
	v_pk_fma_f16 v105, 0xba95b770, v97, v75 op_sel:[0,0,1] op_sel_hi:[1,1,0]
	v_lshrrev_b32_e32 v106, 16, v99
	v_mul_f16_e32 v107, 0xba95, v97
	v_add_f16_e32 v16, v83, v15
	v_add_f16_e32 v28, v24, v19
	v_pk_fma_f16 v19, 0xbb7bba95, v101, v26 op_sel:[0,0,1] op_sel_hi:[1,1,0] neg_lo:[0,1,0] neg_hi:[0,1,0]
	v_bfi_b32 v24, 0xffff, v105, v104
	v_pk_fma_f16 v91, 0xbb7bba95, v101, v26 op_sel:[0,0,1] op_sel_hi:[1,1,0]
	v_fmamk_f16 v26, v106, 0x388b, v107
	v_lshrrev_b32_e32 v92, 16, v25
	v_mul_f16_e32 v94, 0xbb7b, v101
	v_pk_mul_f16 v83, 0x2fb7bbc4, v18
	v_pk_add_f16 v75, v17, v24 op_sel:[1,0] op_sel_hi:[0,1]
	v_bfi_b32 v84, 0xffff, v91, v19
	v_add_f16_sdwa v85, v17, v26 dst_sel:DWORD dst_unused:UNUSED_PAD src0_sel:WORD_1 src1_sel:DWORD
	v_fmamk_f16 v86, v92, 0xb5ac, v94
	v_mul_f16_sdwa v26, v102, v77 dst_sel:DWORD dst_unused:UNUSED_PAD src0_sel:WORD_1 src1_sel:DWORD
	v_pk_fma_f16 v24, 0xb3a8bbf1, v102, v83 op_sel:[0,0,1] op_sel_hi:[1,1,0] neg_lo:[0,1,0] neg_hi:[0,1,0]
	v_pk_fma_f16 v93, 0xb3a8bbf1, v102, v83 op_sel:[0,0,1] op_sel_hi:[1,1,0]
	v_pk_add_f16 v75, v84, v75
	v_add_f16_e32 v85, v86, v85
	v_fma_f16 v86, v18, 0x2fb7, -v26
	v_pk_mul_f16 v108, 0xb5acb9fd, v82
	v_bfi_b32 v109, 0xffff, v93, v24
	v_lshrrev_b32_e32 v110, 16, v18
	v_mul_f16_e32 v111, 0xb3a8, v102
	v_mul_f16_sdwa v84, v96, v53 dst_sel:DWORD dst_unused:UNUSED_PAD src0_sel:WORD_1 src1_sel:DWORD
	v_pk_fma_f16 v83, 0x394ebb7b, v96, v108 op_sel:[0,0,1] op_sel_hi:[1,1,0] neg_lo:[0,1,0] neg_hi:[0,1,0]
	v_pk_fma_f16 v108, 0x394ebb7b, v96, v108 op_sel:[0,0,1] op_sel_hi:[1,1,0]
	v_add_f16_e32 v28, v86, v28
	v_pk_add_f16 v75, v109, v75
	v_fmamk_f16 v86, v110, 0xbbc4, v111
	v_fma_f16 v109, v82, 0xb5ac, -v84
	v_pk_mul_f16 v116, 0xb9fd2fb7, v27
	v_bfi_b32 v112, 0xffff, v108, v83
	v_lshrrev_b32_e32 v113, 16, v82
	v_mul_f16_e32 v114, 0x394e, v96
	v_add_f16_e32 v115, v86, v85
	v_add_f16_e32 v109, v109, v28
	v_pk_fma_f16 v28, 0x3bf1b94e, v98, v116 op_sel:[0,0,1] op_sel_hi:[1,1,0] neg_lo:[0,1,0] neg_hi:[0,1,0]
	v_pk_add_f16 v86, v22, v21
	v_pk_fma_f16 v116, 0x3bf1b94e, v98, v116 op_sel:[0,0,1] op_sel_hi:[1,1,0]
	v_mov_b32_e32 v90, 0x3a95
	v_pk_add_f16 v75, v112, v75
	v_fmamk_f16 v112, v113, 0xb9fd, v114
	v_mul_f16_sdwa v85, v98, v80 dst_sel:DWORD dst_unused:UNUSED_PAD src0_sel:WORD_1 src1_sel:DWORD
	v_lshrrev_b32_e32 v117, 16, v27
	v_mul_f16_e32 v118, 0x3bf1, v98
	v_pk_add_f16 v119, v21, v22 neg_lo:[0,1] neg_hi:[0,1]
	v_pk_mul_f16 v120, 0xbbc43b15, v86
	v_bfi_b32 v22, 0xffff, v116, v28
	v_mul_f16_sdwa v55, v47, v90 dst_sel:DWORD dst_unused:UNUSED_PAD src0_sel:WORD_1 src1_sel:DWORD
	v_add_f16_e32 v112, v112, v115
	v_fma_f16 v115, v27, 0xb9fd, -v85
	v_fmamk_f16 v121, v117, 0x2fb7, v118
	v_pk_fma_f16 v21, 0x3770b3a8, v119, v120 op_sel:[0,0,1] op_sel_hi:[1,1,0] neg_lo:[0,1,0] neg_hi:[0,1,0]
	v_pk_fma_f16 v122, 0x3770b3a8, v119, v120 op_sel:[0,0,1] op_sel_hi:[1,1,0]
	v_lshrrev_b32_e32 v123, 16, v86
	v_mul_f16_e32 v124, 0x3770, v119
	v_pk_add_f16 v75, v22, v75
	v_mul_f16_sdwa v22, v119, v74 dst_sel:DWORD dst_unused:UNUSED_PAD src0_sel:WORD_1 src1_sel:DWORD
	v_fmamk_f16 v15, v44, 0x388b, v55
	v_add_f16_e32 v112, v121, v112
	v_bfi_b32 v121, 0xffff, v122, v21
	v_fmamk_f16 v122, v123, 0x3b15, v124
	v_add_f16_e32 v109, v115, v109
	v_fma_f16 v115, v86, 0xbbc4, -v22
	v_add_f16_e32 v15, v15, v95
	v_pk_add_f16 v75, v121, v75
	v_add_f16_e32 v95, v122, v112
	v_pk_add_f16 v20, v103, v20
	v_add_f16_e32 v103, v115, v109
	v_mul_f16_sdwa v109, v97, v77 dst_sel:DWORD dst_unused:UNUSED_PAD src0_sel:WORD_1 src1_sel:DWORD
	v_mul_f16_e32 v115, 0xbbf1, v97
	v_mul_lo_u16 v112, v69, 13
	v_alignbit_b32 v95, v95, v75, 16
	v_pack_b32_f16 v103, v103, v75
	v_fma_f16 v75, v99, 0x2fb7, -v109
	v_mul_f16_sdwa v121, v101, v74 dst_sel:DWORD dst_unused:UNUSED_PAD src0_sel:WORD_1 src1_sel:DWORD
	v_fmamk_f16 v122, v106, 0x2fb7, v115
	v_mul_f16_e32 v125, 0xb3a8, v101
	v_and_b32_e32 v112, 0xffff, v112
	v_add_f16_e32 v126, v17, v75
	v_mul_f16_sdwa v127, v97, v53 dst_sel:DWORD dst_unused:UNUSED_PAD src0_sel:WORD_1 src1_sel:DWORD
	v_fma_f16 v128, v25, 0xbbc4, -v121
	v_add_f16_sdwa v122, v17, v122 dst_sel:DWORD dst_unused:UNUSED_PAD src0_sel:WORD_1 src1_sel:DWORD
	v_fmamk_f16 v129, v92, 0xbbc4, v125
	v_mul_f16_e32 v130, 0xbb7b, v97
	v_lshl_add_u32 v75, v112, 2, v73
	v_fma_f16 v112, v99, 0xb5ac, -v127
	v_add_f16_e32 v126, v128, v126
	v_add_f16_e32 v122, v129, v122
	v_mul_f16_sdwa v87, v101, v87 dst_sel:DWORD dst_unused:UNUSED_PAD src0_sel:WORD_1 src1_sel:DWORD
	v_fmamk_f16 v128, v106, 0xb5ac, v130
	v_mul_f16_e32 v129, 0x394e, v101
	v_add_f16_e32 v112, v17, v112
	v_mul_f16_sdwa v88, v102, v88 dst_sel:DWORD dst_unused:UNUSED_PAD src0_sel:WORD_1 src1_sel:DWORD
	v_fma_f16 v131, v25, 0xb9fd, -v87
	v_mul_f16_e32 v132, 0x3b7b, v102
	v_add_f16_sdwa v128, v17, v128 dst_sel:DWORD dst_unused:UNUSED_PAD src0_sel:WORD_1 src1_sel:DWORD
	v_fmamk_f16 v133, v92, 0xb9fd, v129
	v_mul_f16_sdwa v135, v102, v76 dst_sel:DWORD dst_unused:UNUSED_PAD src0_sel:WORD_1 src1_sel:DWORD
	v_fma_f16 v134, v18, 0xb5ac, -v88
	v_fmamk_f16 v136, v110, 0xb5ac, v132
	v_add_f16_e32 v112, v131, v112
	v_add_f16_e32 v128, v133, v128
	v_fma_f16 v131, v18, 0x3b15, -v135
	v_mul_f16_e32 v133, 0x3770, v102
	v_add_f16_e32 v126, v134, v126
	v_add_f16_e32 v122, v136, v122
	v_mul_f16_sdwa v134, v96, v76 dst_sel:DWORD dst_unused:UNUSED_PAD src0_sel:WORD_1 src1_sel:DWORD
	v_mul_f16_e32 v136, 0x3770, v96
	v_add_f16_e32 v112, v131, v112
	v_mul_f16_sdwa v131, v96, v77 dst_sel:DWORD dst_unused:UNUSED_PAD src0_sel:WORD_1 src1_sel:DWORD
	v_fmamk_f16 v137, v110, 0x3b15, v133
	v_mul_f16_e32 v140, 0xbbf1, v96
	v_fma_f16 v138, v82, 0x3b15, -v134
	v_fmamk_f16 v139, v113, 0x3b15, v136
	v_fma_f16 v141, v82, 0x2fb7, -v131
	v_add_f16_e32 v128, v137, v128
	v_fmamk_f16 v137, v113, 0x2fb7, v140
	v_add_f16_e32 v126, v138, v126
	v_add_f16_e32 v122, v139, v122
	;; [unrolled: 1-line block ×3, first 2 shown]
	v_mul_f16_sdwa v138, v98, v78 dst_sel:DWORD dst_unused:UNUSED_PAD src0_sel:WORD_1 src1_sel:DWORD
	v_mul_f16_e32 v139, 0xba95, v98
	v_mul_f16_sdwa v141, v98, v79 dst_sel:DWORD dst_unused:UNUSED_PAD src0_sel:WORD_1 src1_sel:DWORD
	v_add_f16_e32 v128, v137, v128
	v_mul_f16_e32 v137, 0x33a8, v98
	v_fma_f16 v142, v27, 0x388b, -v138
	v_fmamk_f16 v143, v117, 0x388b, v139
	v_fma_f16 v144, v27, 0xbbc4, -v141
	v_mul_f16_sdwa v145, v119, v80 dst_sel:DWORD dst_unused:UNUSED_PAD src0_sel:WORD_1 src1_sel:DWORD
	v_fmamk_f16 v146, v117, 0xbbc4, v137
	v_add_f16_e32 v126, v142, v126
	v_add_f16_e32 v122, v143, v122
	;; [unrolled: 1-line block ×3, first 2 shown]
	v_fma_f16 v142, v86, 0xb9fd, -v145
	v_add_f16_e32 v128, v146, v128
	v_mul_f16_sdwa v143, v97, v80 dst_sel:DWORD dst_unused:UNUSED_PAD src0_sel:WORD_1 src1_sel:DWORD
	v_mov_b32_e32 v144, 0x3bf1
	v_mul_f16_e32 v146, 0xb94e, v97
	v_add_f16_e32 v126, v142, v126
	v_mul_f16_e32 v149, 0x3bf1, v101
	v_fma_f16 v142, v99, 0xb9fd, -v143
	v_mul_f16_sdwa v147, v101, v144 dst_sel:DWORD dst_unused:UNUSED_PAD src0_sel:WORD_1 src1_sel:DWORD
	v_fmamk_f16 v148, v106, 0xb9fd, v146
	v_mul_f16_sdwa v153, v102, v78 dst_sel:DWORD dst_unused:UNUSED_PAD src0_sel:WORD_1 src1_sel:DWORD
	v_fmamk_f16 v152, v92, 0x2fb7, v149
	v_add_f16_e32 v142, v17, v142
	v_fma_f16 v151, v25, 0x2fb7, -v147
	v_add_f16_sdwa v148, v17, v148 dst_sel:DWORD dst_unused:UNUSED_PAD src0_sel:WORD_1 src1_sel:DWORD
	v_mul_f16_e32 v154, 0xba95, v102
	v_mul_f16_sdwa v156, v96, v79 dst_sel:DWORD dst_unused:UNUSED_PAD src0_sel:WORD_1 src1_sel:DWORD
	v_mul_f16_e32 v157, 0x33a8, v96
	v_add_f16_e32 v142, v151, v142
	v_add_f16_e32 v148, v152, v148
	v_fma_f16 v151, v18, 0x388b, -v153
	v_fmamk_f16 v152, v110, 0x388b, v154
	v_mul_f16_sdwa v159, v98, v76 dst_sel:DWORD dst_unused:UNUSED_PAD src0_sel:WORD_1 src1_sel:DWORD
	v_mul_f16_e32 v160, 0x3770, v98
	v_mul_f16_sdwa v90, v119, v90 dst_sel:DWORD dst_unused:UNUSED_PAD src0_sel:WORD_1 src1_sel:DWORD
	v_add_f16_e32 v142, v151, v142
	v_add_f16_e32 v148, v152, v148
	v_fma_f16 v151, v82, 0xbbc4, -v156
	v_fmamk_f16 v152, v113, 0xbbc4, v157
	v_mul_f16_e32 v155, 0x3a95, v119
	v_mul_f16_e32 v161, 0xb9fd, v123
	v_mul_f16_sdwa v162, v119, v53 dst_sel:DWORD dst_unused:UNUSED_PAD src0_sel:WORD_1 src1_sel:DWORD
	v_add_f16_e32 v142, v151, v142
	v_add_f16_e32 v148, v152, v148
	v_fma_f16 v151, v27, 0x3b15, -v159
	v_fmamk_f16 v152, v117, 0x3b15, v160
	v_mul_f16_e32 v163, 0xbb7b, v119
	v_fma_f16 v150, v86, 0x388b, -v90
	v_fmamk_f16 v158, v123, 0x388b, v155
	v_fmamk_f16 v164, v119, 0xb94e, v161
	v_add_f16_e32 v142, v151, v142
	v_add_f16_e32 v148, v152, v148
	v_fma_f16 v151, v86, 0xb5ac, -v162
	v_fmamk_f16 v152, v123, 0xb5ac, v163
	v_add_f16_e32 v112, v150, v112
	v_add_f16_e32 v128, v158, v128
	;; [unrolled: 1-line block ×5, first 2 shown]
	v_pk_add_f16 v20, v20, v81
	v_pack_b32_f16 v112, v112, v128
	v_pack_b32_f16 v122, v126, v122
	;; [unrolled: 1-line block ×3, first 2 shown]
	s_barrier
	buffer_gl0_inv
	ds_write2_b32 v75, v103, v95 offset0:1 offset1:2
	ds_write2_b32 v75, v122, v112 offset0:3 offset1:4
	ds_write2_b32 v75, v20, v81 offset1:5
	v_fma_f16 v20, v106, 0x388b, -v107
	v_fma_f16 v81, v106, 0x2fb7, -v115
	;; [unrolled: 1-line block ×4, first 2 shown]
	v_pk_mul_f16 v106, 0xbbc4, v99 op_sel_hi:[0,1]
	v_fmac_f16_e32 v100, 0x3b15, v99
	v_fmac_f16_e32 v109, 0x2fb7, v99
	;; [unrolled: 1-line block ×4, first 2 shown]
	v_pk_fma_f16 v99, 0xb3a8, v97, v106 op_sel:[0,0,1] op_sel_hi:[0,1,0] neg_lo:[0,1,0] neg_hi:[0,1,0]
	v_add_f16_e32 v126, v17, v100
	v_pk_add_f16 v100, v17, v105 op_sel:[1,0] op_sel_hi:[0,1]
	v_pk_mul_f16 v105, 0x3b15, v25 op_sel_hi:[0,1]
	v_pk_fma_f16 v97, 0xb3a8, v97, v106 op_sel:[0,0,1] op_sel_hi:[0,1,0]
	v_add_f16_e32 v106, v17, v109
	v_pk_add_f16 v99, v17, v99 op_sel:[1,0] op_sel_hi:[0,1]
	v_pk_mul_f16 v112, 0xb9fd, v18 op_sel_hi:[0,1]
	v_pk_fma_f16 v109, 0x3770, v101, v105 op_sel:[0,0,1] op_sel_hi:[0,1,0] neg_lo:[0,1,0] neg_hi:[0,1,0]
	v_pk_add_f16 v97, v17, v97 op_sel:[1,0] op_sel_hi:[0,1]
	v_pk_fma_f16 v101, 0x3770, v101, v105 op_sel:[0,0,1] op_sel_hi:[0,1,0]
	v_add_f16_e32 v107, v17, v127
	v_pk_fma_f16 v105, 0xb94e, v102, v112 op_sel:[0,0,1] op_sel_hi:[0,1,0] neg_lo:[0,1,0] neg_hi:[0,1,0]
	v_pk_add_f16 v99, v109, v99
	v_pk_mul_f16 v109, 0x388b, v82 op_sel_hi:[0,1]
	v_pk_add_f16 v97, v101, v97
	v_pk_fma_f16 v101, 0xb94e, v102, v112 op_sel:[0,0,1] op_sel_hi:[0,1,0]
	v_add_f16_sdwa v95, v17, v95 dst_sel:DWORD dst_unused:UNUSED_PAD src0_sel:WORD_1 src1_sel:DWORD
	v_pk_add_f16 v99, v105, v99
	v_pk_fma_f16 v102, 0x3a95, v96, v109 op_sel:[0,0,1] op_sel_hi:[0,1,0] neg_lo:[0,1,0] neg_hi:[0,1,0]
	v_pk_mul_f16 v105, 0xb5ac, v27 op_sel_hi:[0,1]
	v_pk_add_f16 v97, v101, v97
	v_pk_fma_f16 v96, 0x3a95, v96, v109 op_sel:[0,0,1] op_sel_hi:[0,1,0]
	v_add_f16_e32 v115, v17, v143
	v_pk_add_f16 v99, v102, v99
	v_pk_fma_f16 v101, 0xbb7b, v98, v105 op_sel:[0,0,1] op_sel_hi:[0,1,0] neg_lo:[0,1,0] neg_hi:[0,1,0]
	v_pk_mul_f16 v102, 0x2fb7, v86 op_sel_hi:[0,1]
	v_pk_add_f16 v96, v96, v97
	v_pk_fma_f16 v97, 0xbb7b, v98, v105 op_sel:[0,0,1] op_sel_hi:[0,1,0]
	v_fmac_f16_e32 v87, 0xb9fd, v25
	v_pk_add_f16 v98, v101, v99
	v_pk_fma_f16 v99, 0x3bf1, v119, v102 op_sel:[0,0,1] op_sel_hi:[0,1,0] neg_lo:[0,1,0] neg_hi:[0,1,0]
	v_fma_f16 v101, v92, 0xb9fd, -v129
	v_fmac_f16_e32 v147, 0x2fb7, v25
	v_add_f16_sdwa v103, v17, v103 dst_sel:DWORD dst_unused:UNUSED_PAD src0_sel:WORD_1 src1_sel:DWORD
	v_pk_add_f16 v96, v97, v96
	v_pk_add_f16 v97, v99, v98
	v_add_f16_e32 v87, v87, v107
	v_add_f16_e32 v95, v101, v95
	;; [unrolled: 1-line block ×3, first 2 shown]
	v_fma_f16 v99, v92, 0x2fb7, -v149
	v_fmac_f16_e32 v135, 0x3b15, v18
	v_fma_f16 v101, v110, 0x3b15, -v133
	v_fmac_f16_e32 v153, 0x388b, v18
	v_pk_fma_f16 v102, 0x3bf1, v119, v102 op_sel:[0,0,1] op_sel_hi:[0,1,0]
	v_add_f16_e32 v99, v99, v103
	v_add_f16_e32 v87, v135, v87
	;; [unrolled: 1-line block ×4, first 2 shown]
	v_fmac_f16_e32 v131, 0x2fb7, v82
	v_fma_f16 v103, v113, 0x2fb7, -v140
	v_fmac_f16_e32 v156, 0xbbc4, v82
	v_add_f16_sdwa v20, v17, v20 dst_sel:DWORD dst_unused:UNUSED_PAD src0_sel:WORD_1 src1_sel:DWORD
	v_add_f16_sdwa v81, v17, v81 dst_sel:DWORD dst_unused:UNUSED_PAD src0_sel:WORD_1 src1_sel:DWORD
	v_pk_add_f16 v96, v102, v96
	v_add_f16_e32 v87, v131, v87
	v_add_f16_e32 v95, v103, v95
	;; [unrolled: 1-line block ×3, first 2 shown]
	v_fmac_f16_e32 v141, 0xbbc4, v27
	v_fma_f16 v102, v117, 0xbbc4, -v137
	v_fmac_f16_e32 v159, 0x3b15, v27
	v_fma_f16 v94, v92, 0xb5ac, -v94
	v_fma_f16 v92, v92, 0xbbc4, -v125
	v_pk_add_f16 v91, v91, v100
	v_add_f16_e32 v87, v141, v87
	v_add_f16_e32 v95, v102, v95
	;; [unrolled: 1-line block ×3, first 2 shown]
	v_fmac_f16_e32 v90, 0x388b, v86
	v_fma_f16 v102, v123, 0x388b, -v155
	v_fmac_f16_e32 v162, 0xb5ac, v86
	v_fmac_f16_e32 v121, 0xbbc4, v25
	v_add_f16_e32 v20, v94, v20
	v_add_f16_e32 v81, v92, v81
	v_fma_f16 v92, v110, 0xbbc4, -v111
	v_fma_f16 v94, v110, 0xb5ac, -v132
	v_pk_add_f16 v91, v93, v91
	v_add_f16_e32 v87, v90, v87
	v_add_f16_e32 v90, v102, v95
	;; [unrolled: 1-line block ×4, first 2 shown]
	v_fmac_f16_e32 v88, 0xb5ac, v18
	v_add_f16_e32 v20, v92, v20
	v_add_f16_e32 v81, v94, v81
	v_fma_f16 v92, v113, 0xb9fd, -v114
	v_fma_f16 v93, v113, 0x3b15, -v136
	v_pk_add_f16 v91, v108, v91
	v_mul_f16_e32 v94, 0xb94e, v119
	v_fma_f16 v101, v110, 0x388b, -v154
	v_add_f16_e32 v88, v88, v98
	v_add_f16_e32 v20, v92, v20
	;; [unrolled: 1-line block ×3, first 2 shown]
	v_fma_f16 v92, v117, 0x388b, -v139
	v_pk_mul_f16 v93, 0x3770b3a8, v119
	v_bfi_b32 v94, 0xffff, v94, v91
	v_fma_f16 v98, v117, 0x2fb7, -v118
	v_fmac_f16_e32 v134, 0x3b15, v82
	v_add_f16_e32 v99, v101, v99
	v_fma_f16 v101, v113, 0xbbc4, -v157
	v_pack_b32_f16 v92, v92, v120
	v_bfi_b32 v81, 0xffff, v81, v93
	v_pk_add_f16 v93, v161, v94 neg_lo:[0,1] neg_hi:[0,1]
	v_pk_add_f16 v91, v116, v91
	v_add_f16_e32 v88, v134, v88
	v_add_f16_e32 v20, v98, v20
	v_fmac_f16_e32 v138, 0x388b, v27
	v_fma_f16 v94, v123, 0x3b15, -v124
	v_add_f16_e32 v99, v101, v99
	v_fma_f16 v101, v117, 0x3b15, -v160
	v_pk_add_f16 v81, v92, v81
	v_bfi_b32 v91, 0xffff, v93, v91
	v_add_f16_e32 v88, v138, v88
	v_add_f16_e32 v92, v94, v20
	v_fmac_f16_e32 v145, 0xb9fd, v86
	v_mul_f16_sdwa v20, v30, v89 dst_sel:DWORD dst_unused:UNUSED_PAD src0_sel:WORD_1 src1_sel:DWORD
	v_alignbit_b32 v127, v97, v96, 16
	v_alignbit_b32 v128, v96, v97, 16
	v_add_f16_e32 v96, v101, v99
	v_fma_f16 v97, v123, 0xb5ac, -v163
	v_pk_add_f16 v81, v91, v81
	v_pack_b32_f16 v125, v87, v90
	v_add_f16_e32 v87, v145, v88
	v_fmamk_f16 v89, v31, 0x3b15, v20
	v_lshrrev_b32_e32 v111, 16, v31
	v_mul_f16_e32 v88, 0xba95, v30
	v_add_f16_e32 v96, v97, v96
	v_alignbit_b32 v130, v92, v81, 16
	v_pack_b32_f16 v131, v87, v81
	v_add_f16_e32 v87, v89, v6
	v_mul_f16_e32 v93, 0xbbf1, v30
	v_mul_f16_sdwa v81, v33, v78 dst_sel:DWORD dst_unused:UNUSED_PAD src0_sel:WORD_1 src1_sel:DWORD
	v_fma_f16 v90, v111, 0x388b, -v88
	v_lshrrev_b32_e32 v114, 16, v32
	v_mul_f16_e32 v89, 0xbb7b, v33
	v_pack_b32_f16 v129, v95, v96
	v_fma_f16 v91, v111, 0x2fb7, -v93
	v_mul_f16_e32 v95, 0xb3a8, v33
	v_fmamk_f16 v92, v32, 0x388b, v81
	v_add_f16_sdwa v90, v90, v6 dst_sel:DWORD dst_unused:UNUSED_PAD src0_sel:DWORD src1_sel:WORD_1
	v_fma_f16 v94, v114, 0xb5ac, -v89
	v_mul_f16_e32 v103, 0xbb7b, v30
	v_mul_f16_sdwa v107, v30, v80 dst_sel:DWORD dst_unused:UNUSED_PAD src0_sel:WORD_1 src1_sel:DWORD
	v_add_f16_sdwa v17, v17, v104 dst_sel:DWORD dst_unused:UNUSED_PAD src0_sel:WORD_1 src1_sel:DWORD
	v_add_f16_sdwa v91, v91, v6 dst_sel:DWORD dst_unused:UNUSED_PAD src0_sel:DWORD src1_sel:WORD_1
	v_fma_f16 v96, v114, 0xbbc4, -v95
	v_add_f16_e32 v92, v92, v87
	v_add_f16_e32 v90, v94, v90
	v_fma_f16 v87, v111, 0xb5ac, -v103
	v_mul_f16_e32 v104, 0x394e, v33
	v_fmamk_f16 v94, v31, 0xb9fd, v107
	v_mul_f16_sdwa v108, v33, v144 dst_sel:DWORD dst_unused:UNUSED_PAD src0_sel:WORD_1 src1_sel:DWORD
	v_mul_f16_e32 v112, 0xb94e, v30
	v_add_f16_e32 v91, v96, v91
	v_add_f16_sdwa v96, v87, v6 dst_sel:DWORD dst_unused:UNUSED_PAD src0_sel:DWORD src1_sel:WORD_1
	v_fma_f16 v97, v114, 0xb9fd, -v104
	v_add_f16_e32 v94, v94, v6
	v_fmamk_f16 v98, v32, 0x2fb7, v108
	v_fma_f16 v99, v111, 0xb9fd, -v112
	v_mul_f16_e32 v113, 0x3bf1, v33
	v_mul_f16_sdwa v87, v34, v77 dst_sel:DWORD dst_unused:UNUSED_PAD src0_sel:WORD_1 src1_sel:DWORD
	v_add_f16_e32 v77, v97, v96
	v_add_f16_e32 v96, v98, v94
	v_add_f16_sdwa v98, v99, v6 dst_sel:DWORD dst_unused:UNUSED_PAD src0_sel:DWORD src1_sel:WORD_1
	v_fma_f16 v99, v114, 0x2fb7, -v113
	v_fmamk_f16 v100, v37, 0x2fb7, v87
	v_lshrrev_b32_e32 v119, 16, v37
	v_mul_f16_e32 v94, 0xb3a8, v34
	v_mul_f16_e32 v97, 0x3b7b, v34
	;; [unrolled: 1-line block ×3, first 2 shown]
	v_add_f16_e32 v98, v99, v98
	v_add_f16_e32 v99, v100, v92
	v_fma_f16 v92, v119, 0xbbc4, -v94
	v_fma_f16 v100, v119, 0xb5ac, -v97
	;; [unrolled: 1-line block ×3, first 2 shown]
	v_mul_f16_sdwa v110, v34, v78 dst_sel:DWORD dst_unused:UNUSED_PAD src0_sel:WORD_1 src1_sel:DWORD
	v_mul_f16_e32 v117, 0xba95, v34
	v_add_f16_e32 v78, v92, v90
	v_add_f16_e32 v91, v100, v91
	;; [unrolled: 1-line block ×3, first 2 shown]
	v_fmamk_f16 v100, v37, 0x388b, v110
	v_fma_f16 v101, v119, 0x388b, -v117
	v_mul_f16_sdwa v90, v36, v53 dst_sel:DWORD dst_unused:UNUSED_PAD src0_sel:WORD_1 src1_sel:DWORD
	v_lshrrev_b32_e32 v121, 16, v35
	v_mul_f16_e32 v92, 0x394e, v36
	v_mul_f16_e32 v102, 0x3770, v36
	v_add_f16_e32 v100, v100, v96
	v_fmamk_f16 v96, v35, 0xb5ac, v90
	v_add_f16_e32 v98, v101, v98
	v_fma_f16 v101, v121, 0xb9fd, -v92
	v_fma_f16 v105, v121, 0x3b15, -v102
	v_mul_f16_e32 v109, 0xbbf1, v36
	v_mul_f16_sdwa v115, v36, v79 dst_sel:DWORD dst_unused:UNUSED_PAD src0_sel:WORD_1 src1_sel:DWORD
	v_add_f16_e32 v99, v96, v99
	v_add_f16_e32 v78, v101, v78
	;; [unrolled: 1-line block ×3, first 2 shown]
	v_fma_f16 v101, v121, 0x2fb7, -v109
	v_fmamk_f16 v105, v35, 0xbbc4, v115
	v_mul_f16_sdwa v91, v38, v80 dst_sel:DWORD dst_unused:UNUSED_PAD src0_sel:WORD_1 src1_sel:DWORD
	v_lshrrev_b32_e32 v122, 16, v41
	v_mul_f16_e32 v96, 0x3bf1, v38
	v_add_f16_e32 v77, v101, v77
	v_add_f16_e32 v101, v105, v100
	v_fmamk_f16 v100, v41, 0xb9fd, v91
	v_mul_f16_e32 v116, 0x33a8, v38
	v_fma_f16 v120, v122, 0x2fb7, -v96
	v_pk_mul_f16 v133, 0x3b15388b, v31
	v_pk_mul_f16 v134, 0x388bb5ac, v32
	v_add_f16_e32 v132, v100, v99
	v_fma_f16 v100, v122, 0xbbc4, -v116
	v_add_f16_e32 v78, v120, v78
	v_mul_f16_sdwa v120, v38, v76 dst_sel:DWORD dst_unused:UNUSED_PAD src0_sel:WORD_1 src1_sel:DWORD
	v_pk_fma_f16 v99, 0xba95b770, v30, v133 op_sel:[0,0,1] op_sel_hi:[1,1,0]
	v_mul_f16_e32 v118, 0x33a8, v36
	v_add_f16_e32 v135, v100, v77
	v_pk_fma_f16 v100, 0xbb7bba95, v33, v134 op_sel:[0,0,1] op_sel_hi:[1,1,0]
	v_fmamk_f16 v76, v41, 0x3b15, v120
	v_add_f16_sdwa v77, v99, v6 dst_sel:DWORD dst_unused:UNUSED_PAD src0_sel:WORD_1 src1_sel:DWORD
	v_pk_mul_f16 v136, 0x2fb7bbc4, v37
	v_fma_f16 v80, v121, 0xbbc4, -v118
	v_mul_f16_e32 v105, 0xba95, v38
	v_fmac_f16_e32 v23, 0x388b, v25
	v_add_f16_e32 v137, v76, v101
	v_mul_f16_e32 v123, 0x3770, v38
	v_add_f16_sdwa v76, v100, v77 dst_sel:DWORD dst_unused:UNUSED_PAD src0_sel:WORD_1 src1_sel:DWORD
	v_pk_fma_f16 v25, 0xb3a8bbf1, v34, v136 op_sel:[0,0,1] op_sel_hi:[1,1,0]
	v_pk_mul_f16 v138, 0xb5acb9fd, v35
	v_add_f16_e32 v80, v80, v98
	v_fma_f16 v98, v122, 0x388b, -v105
	v_add_f16_e32 v77, v23, v126
	v_fmac_f16_e32 v26, 0x2fb7, v18
	v_fma_f16 v18, v122, 0x3b15, -v123
	v_add_f16_sdwa v76, v25, v76 dst_sel:DWORD dst_unused:UNUSED_PAD src0_sel:WORD_1 src1_sel:DWORD
	v_pk_fma_f16 v23, 0x394ebb7b, v36, v138 op_sel:[0,0,1] op_sel_hi:[1,1,0]
	v_pk_mul_f16 v126, 0xb9fd2fb7, v41
	v_add_f16_e32 v79, v98, v79
	v_add_f16_e32 v80, v18, v80
	v_mul_f16_sdwa v98, v47, v74 dst_sel:DWORD dst_unused:UNUSED_PAD src0_sel:WORD_1 src1_sel:DWORD
	v_add_f16_sdwa v18, v23, v76 dst_sel:DWORD dst_unused:UNUSED_PAD src0_sel:WORD_1 src1_sel:DWORD
	v_pk_fma_f16 v101, 0x3bf1b94e, v38, v126 op_sel:[0,0,1] op_sel_hi:[1,1,0]
	v_pk_mul_f16 v74, 0xbbc43b15, v44
	v_add_f16_e32 v17, v19, v17
	v_add_f16_e32 v76, v26, v77
	v_fmac_f16_e32 v84, 0xb5ac, v82
	v_fmamk_f16 v77, v44, 0xbbc4, v98
	v_add_f16_sdwa v82, v101, v18 dst_sel:DWORD dst_unused:UNUSED_PAD src0_sel:WORD_1 src1_sel:DWORD
	v_pk_fma_f16 v19, 0x3770b3a8, v47, v74 op_sel:[0,0,1] op_sel_hi:[1,1,0]
	v_lshrrev_b32_e32 v124, 16, v44
	v_mul_f16_e32 v26, 0x3770, v47
	v_add_f16_e32 v24, v24, v17
	v_add_f16_e32 v18, v77, v132
	v_add_f16_sdwa v17, v19, v82 dst_sel:DWORD dst_unused:UNUSED_PAD src0_sel:WORD_1 src1_sel:DWORD
	v_add_f16_e32 v77, v84, v76
	v_fmac_f16_e32 v85, 0xb9fd, v27
	v_pk_fma_f16 v82, 0xba95b770, v30, v133 op_sel:[0,0,1] op_sel_hi:[1,1,0] neg_lo:[0,1,0] neg_hi:[0,1,0]
	v_fma_f16 v76, v124, 0x3b15, -v26
	v_add_f16_e32 v24, v83, v24
	v_mul_f16_e32 v84, 0xb94e, v47
	v_add_f16_e32 v27, v85, v77
	v_pk_fma_f16 v83, 0xbb7bba95, v33, v134 op_sel:[0,0,1] op_sel_hi:[1,1,0] neg_lo:[0,1,0] neg_hi:[0,1,0]
	v_add_f16_sdwa v77, v82, v6 dst_sel:DWORD dst_unused:UNUSED_PAD src0_sel:DWORD src1_sel:WORD_1
	v_add_f16_e32 v76, v76, v78
	v_fma_f16 v78, v124, 0xb9fd, -v84
	v_fmac_f16_e32 v22, 0xbbc4, v86
	v_add_f16_e32 v28, v28, v24
	v_pk_fma_f16 v24, 0xb3a8bbf1, v34, v136 op_sel:[0,0,1] op_sel_hi:[1,1,0] neg_lo:[0,1,0] neg_hi:[0,1,0]
	v_add_f16_e32 v86, v83, v77
	v_add_f16_e32 v77, v78, v79
	v_mul_f16_e32 v85, 0x3a95, v47
	v_add_f16_e32 v22, v22, v27
	v_pk_fma_f16 v27, 0x394ebb7b, v36, v138 op_sel:[0,0,1] op_sel_hi:[1,1,0] neg_lo:[0,1,0] neg_hi:[0,1,0]
	v_add_f16_e32 v78, v24, v86
	v_add_f16_e32 v132, v21, v28
	v_fma_f16 v21, v124, 0x388b, -v85
	v_mul_f16_e32 v86, 0xbb7b, v47
	v_pk_fma_f16 v28, 0x3bf1b94e, v38, v126 op_sel:[0,0,1] op_sel_hi:[1,1,0] neg_lo:[0,1,0] neg_hi:[0,1,0]
	v_add_f16_e32 v78, v27, v78
	v_mul_f16_sdwa v53, v47, v53 dst_sel:DWORD dst_unused:UNUSED_PAD src0_sel:WORD_1 src1_sel:DWORD
	v_add_f16_e32 v79, v21, v135
	v_fma_f16 v126, v124, 0xb5ac, -v86
	v_pk_fma_f16 v21, 0x3770b3a8, v47, v74 op_sel:[0,0,1] op_sel_hi:[1,1,0] neg_lo:[0,1,0] neg_hi:[0,1,0]
	v_add_f16_e32 v74, v28, v78
	v_fmamk_f16 v133, v44, 0xb5ac, v53
	v_add_co_u32 v134, null, v69, 13
	v_pack_b32_f16 v132, v22, v132
	v_add_f16_e32 v80, v126, v80
	v_add_f16_e32 v78, v21, v74
	;; [unrolled: 1-line block ×3, first 2 shown]
	v_mul_u32_u24_e32 v74, 13, v134
	ds_write2_b32 v75, v128, v127 offset0:6 offset1:7
	ds_write2_b32 v75, v129, v125 offset0:8 offset1:9
	ds_write2_b32 v75, v131, v130 offset0:10 offset1:11
	ds_write_b32 v75, v132 offset:48
	s_and_saveexec_b32 s2, vcc_lo
	s_cbranch_execz .LBB0_7
; %bb.6:
	v_mul_f16_e32 v130, 0xb5ac, v31
	v_mul_f16_e32 v137, 0xb9fd, v32
	;; [unrolled: 1-line block ×5, first 2 shown]
	v_sub_f16_e32 v42, v130, v42
	v_sub_f16_e32 v49, v137, v49
	v_mul_f16_e32 v151, 0x2fb7, v35
	v_add_f16_e32 v93, v93, v129
	v_mul_f16_e32 v128, 0x2fb7, v31
	v_add_f16_e32 v42, v42, v6
	v_mul_f16_e32 v143, 0xb5ac, v119
	v_mul_f16_e32 v157, 0xbbc4, v41
	v_alignbit_b32 v125, v6, v6, 16
	v_mul_f16_e32 v127, 0x388b, v111
	v_add_f16_e32 v42, v49, v42
	v_sub_f16_e32 v49, v144, v50
	v_mul_f16_e32 v135, 0xbbc4, v32
	v_mul_f16_e32 v150, 0x3b15, v121
	v_sub_f16_e32 v40, v128, v40
	v_mul_f16_e32 v131, 0xb5ac, v111
	v_add_f16_e32 v42, v49, v42
	v_sub_f16_e32 v49, v151, v54
	v_add_f16_sdwa v54, v93, v6 dst_sel:DWORD dst_unused:UNUSED_PAD src0_sel:DWORD src1_sel:WORD_1
	v_add_f16_e32 v93, v95, v136
	v_mul_f16_e32 v111, 0xb9fd, v111
	v_mul_f16_e32 v134, 0xb5ac, v114
	v_add_f16_e32 v42, v49, v42
	v_sub_f16_e32 v49, v157, v56
	v_add_f16_e32 v54, v93, v54
	v_add_f16_e32 v56, v97, v143
	v_mul_f16_e32 v142, 0xb5ac, v37
	v_mul_f16_e32 v156, 0x388b, v122
	v_add_f16_e32 v42, v49, v42
	v_add_f16_e32 v40, v40, v6
	v_sub_f16_e32 v43, v135, v43
	v_add_f16_e32 v49, v56, v54
	v_add_f16_e32 v54, v102, v150
	;; [unrolled: 1-line block ×3, first 2 shown]
	v_pk_add_f16 v7, v7, v125 op_sel:[0,1] op_sel_hi:[1,0]
	v_mul_f16_e32 v138, 0xb9fd, v114
	v_mul_f16_e32 v114, 0x2fb7, v114
	;; [unrolled: 1-line block ×4, first 2 shown]
	v_add_f16_e32 v111, v112, v111
	v_add_f16_e32 v40, v43, v40
	v_sub_f16_e32 v43, v142, v46
	v_add_f16_e32 v46, v54, v49
	v_add_f16_e32 v49, v105, v156
	v_add_f16_sdwa v54, v56, v6 dst_sel:DWORD dst_unused:UNUSED_PAD src0_sel:DWORD src1_sel:WORD_1
	v_add_f16_e32 v56, v89, v134
	v_pk_add_f16 v7, v10, v7
	v_mul_f16_e32 v126, 0x3b15, v31
	v_mul_f16_e32 v132, 0xb9fd, v31
	;; [unrolled: 1-line block ×6, first 2 shown]
	v_add_f16_sdwa v111, v111, v6 dst_sel:DWORD dst_unused:UNUSED_PAD src0_sel:DWORD src1_sel:WORD_1
	v_add_f16_e32 v113, v113, v114
	v_add_f16_e32 v40, v43, v40
	v_sub_f16_e32 v43, v149, v48
	v_add_f16_e32 v46, v49, v46
	v_add_f16_e32 v48, v56, v54
	v_add_f16_e32 v49, v94, v141
	v_pk_add_f16 v7, v11, v7
	v_mul_f16_e32 v133, 0x388b, v32
	v_mul_f16_e32 v155, 0x2fb7, v122
	v_add_f16_e32 v111, v113, v111
	v_add_f16_e32 v113, v117, v119
	v_mul_f16_e32 v117, 0xb9fd, v44
	v_sub_f16_e32 v107, v132, v107
	v_add_f16_e32 v103, v103, v131
	v_add_f16_e32 v40, v43, v40
	v_sub_f16_e32 v43, v112, v51
	v_add_f16_e32 v48, v49, v48
	v_add_f16_e32 v49, v92, v148
	v_sub_f16_e32 v20, v126, v20
	v_pk_add_f16 v7, v8, v7
	v_mul_f16_e32 v140, 0x2fb7, v37
	v_mul_f16_e32 v160, 0x3b15, v124
	v_add_f16_e32 v107, v107, v6
	v_add_f16_sdwa v103, v103, v6 dst_sel:DWORD dst_unused:UNUSED_PAD src0_sel:DWORD src1_sel:WORD_1
	v_add_f16_e32 v10, v43, v40
	v_sub_f16_e32 v40, v117, v52
	v_add_f16_e32 v43, v49, v48
	v_add_f16_e32 v11, v96, v155
	;; [unrolled: 1-line block ×3, first 2 shown]
	v_sub_f16_e32 v20, v133, v81
	v_pk_add_f16 v7, v9, v7
	v_bfi_b32 v9, 0xffff, v99, v82
	v_mul_f16_e32 v147, 0xb5ac, v35
	v_add_f16_e32 v8, v40, v10
	v_add_f16_e32 v10, v11, v43
	;; [unrolled: 1-line block ×3, first 2 shown]
	v_sub_f16_e32 v11, v140, v87
	v_add_f16_e32 v20, v26, v160
	v_bfi_b32 v26, 0xffff, v100, v83
	v_pk_add_f16 v4, v4, v7
	v_pk_add_f16 v7, v9, v125
	v_add_f16_e32 v6, v11, v6
	v_sub_f16_e32 v9, v147, v90
	v_bfi_b32 v11, 0xffff, v25, v24
	v_pk_add_f16 v4, v5, v4
	v_pk_add_f16 v5, v26, v7
	v_mul_f16_e32 v154, 0xb9fd, v41
	v_add_f16_e32 v6, v9, v6
	v_bfi_b32 v9, 0xffff, v23, v27
	v_pk_add_f16 v2, v2, v4
	v_pk_add_f16 v4, v11, v5
	v_bfi_b32 v5, 0xffff, v101, v28
	v_mul_f16_e32 v139, 0x2fb7, v32
	v_mul_f16_e32 v159, 0xbbc4, v44
	v_pk_add_f16 v2, v3, v2
	v_pk_add_f16 v3, v9, v4
	v_pk_mul_f16 v4, 0xb3a8, v30 op_sel_hi:[0,1]
	v_sub_f16_e32 v7, v154, v91
	v_bfi_b32 v9, 0xffff, v19, v21
	v_pk_add_f16 v0, v0, v2
	v_pk_add_f16 v2, v5, v3
	v_pk_fma_f16 v3, 0xbbc4, v31, v4 op_sel:[0,0,1] op_sel_hi:[0,1,0] neg_lo:[0,0,1] neg_hi:[0,0,1]
	v_pk_fma_f16 v4, 0xbbc4, v31, v4 op_sel:[0,0,1] op_sel_hi:[0,1,0]
	v_pk_mul_f16 v5, 0x3770, v33 op_sel_hi:[0,1]
	v_add_f16_e32 v104, v104, v138
	v_mul_f16_e32 v146, 0x388b, v37
	v_sub_f16_e32 v108, v139, v108
	v_add_f16_e32 v6, v7, v6
	v_sub_f16_e32 v7, v159, v98
	v_pk_add_f16 v0, v1, v0
	v_pk_add_f16 v1, v9, v2
	v_bfi_b32 v2, 0xffff, v3, v4
	v_pk_fma_f16 v9, 0x3b15, v32, v5 op_sel:[0,0,1] op_sel_hi:[0,1,0] neg_lo:[0,0,1] neg_hi:[0,0,1]
	v_pk_fma_f16 v5, 0x3b15, v32, v5 op_sel:[0,0,1] op_sel_hi:[0,1,0]
	v_pk_mul_f16 v11, 0xb94e, v34 op_sel_hi:[0,1]
	v_bfi_b32 v3, 0xffff, v4, v3
	v_mul_f16_e32 v152, 0x2fb7, v121
	v_add_f16_e32 v103, v104, v103
	v_add_f16_e32 v104, v106, v145
	v_mul_f16_e32 v153, 0xbbc4, v35
	v_mul_f16_e32 v121, 0xbbc4, v121
	v_add_f16_e32 v107, v108, v107
	v_sub_f16_e32 v108, v146, v110
	v_add_f16_e32 v10, v20, v10
	v_add_f16_e32 v6, v7, v6
	v_pk_add_f16 v2, v2, v125 op_sel:[0,1] op_sel_hi:[1,0]
	v_bfi_b32 v19, 0xffff, v9, v5
	v_pk_fma_f16 v20, 0xb9fd, v37, v11 op_sel:[0,0,1] op_sel_hi:[0,1,0] neg_lo:[0,0,1] neg_hi:[0,0,1]
	v_pk_fma_f16 v11, 0xb9fd, v37, v11 op_sel:[0,0,1] op_sel_hi:[0,1,0]
	v_pk_mul_f16 v4, 0x3a95, v36 op_sel_hi:[0,1]
	v_pk_add_f16 v3, v3, v125 op_sel:[0,1] op_sel_hi:[1,0]
	v_bfi_b32 v5, 0xffff, v5, v9
	v_mul_f16_e32 v158, 0xbbc4, v122
	v_add_f16_e32 v103, v104, v103
	v_add_f16_e32 v104, v109, v152
	v_mul_f16_e32 v114, 0x3b15, v41
	v_mul_f16_e32 v122, 0x3b15, v122
	v_add_f16_e32 v111, v113, v111
	v_add_f16_e32 v113, v118, v121
	;; [unrolled: 1-line block ×3, first 2 shown]
	v_sub_f16_e32 v108, v153, v115
	v_alignbit_b32 v10, v10, v1, 16
	v_pack_b32_f16 v1, v6, v1
	v_pk_add_f16 v2, v19, v2
	v_bfi_b32 v6, 0xffff, v20, v11
	v_pk_fma_f16 v9, 0x388b, v35, v4 op_sel:[0,0,1] op_sel_hi:[0,1,0] neg_lo:[0,0,1] neg_hi:[0,0,1]
	v_pk_fma_f16 v4, 0x388b, v35, v4 op_sel:[0,0,1] op_sel_hi:[0,1,0]
	v_pk_mul_f16 v19, 0xbb7b, v38 op_sel_hi:[0,1]
	v_pk_add_f16 v3, v5, v3
	v_bfi_b32 v5, 0xffff, v11, v20
	v_mul_f16_e32 v119, 0xb9fd, v124
	v_mul_f16_e32 v161, 0x388b, v44
	;; [unrolled: 1-line block ×3, first 2 shown]
	v_add_f16_e32 v50, v104, v103
	v_add_f16_e32 v103, v116, v158
	v_mul_f16_e32 v121, 0xb5ac, v44
	v_add_f16_e32 v111, v113, v111
	v_add_f16_e32 v113, v123, v122
	v_mul_f16_e32 v122, 0xb5ac, v124
	v_add_f16_e32 v106, v108, v107
	v_sub_f16_e32 v107, v114, v120
	v_pk_add_f16 v2, v6, v2
	v_bfi_b32 v6, 0xffff, v9, v4
	v_pk_fma_f16 v11, 0xb5ac, v41, v19 op_sel:[0,0,1] op_sel_hi:[0,1,0] neg_lo:[0,0,1] neg_hi:[0,0,1]
	v_pk_fma_f16 v19, 0xb5ac, v41, v19 op_sel:[0,0,1] op_sel_hi:[0,1,0]
	v_pk_mul_f16 v20, 0x3bf1, v47 op_sel_hi:[0,1]
	v_pk_add_f16 v3, v5, v3
	v_bfi_b32 v4, 0xffff, v4, v9
	v_add_f16_e32 v50, v103, v50
	v_add_f16_e32 v85, v85, v118
	v_sub_f16_e32 v55, v161, v55
	v_add_f16_e32 v51, v84, v119
	v_add_f16_e32 v110, v113, v111
	;; [unrolled: 1-line block ×4, first 2 shown]
	v_sub_f16_e32 v53, v121, v53
	v_lshl_add_u32 v7, v74, 2, v73
	v_pk_add_f16 v0, v29, v0
	v_pk_add_f16 v2, v6, v2
	v_bfi_b32 v5, 0xffff, v11, v19
	v_pk_fma_f16 v6, 0x2fb7, v44, v20 op_sel:[0,0,1] op_sel_hi:[0,1,0] neg_lo:[0,0,1] neg_hi:[0,0,1]
	v_pk_fma_f16 v9, 0x2fb7, v44, v20 op_sel:[0,0,1] op_sel_hi:[0,1,0]
	v_pk_add_f16 v3, v4, v3
	v_bfi_b32 v4, 0xffff, v19, v11
	v_add_f16_e32 v50, v85, v50
	v_add_f16_e32 v42, v55, v42
	;; [unrolled: 1-line block ×5, first 2 shown]
	ds_write_b32 v7, v0
	ds_write2_b32 v7, v1, v10 offset0:1 offset1:2
	v_pk_add_f16 v0, v5, v2
	v_bfi_b32 v1, 0xffff, v6, v9
	v_pk_add_f16 v2, v4, v3
	v_bfi_b32 v3, 0xffff, v9, v6
	v_pack_b32_f16 v4, v42, v50
	v_pack_b32_f16 v5, v8, v46
	v_pk_add_f16 v0, v1, v0
	v_pack_b32_f16 v1, v53, v86
	v_pk_add_f16 v2, v3, v2
	v_perm_b32 v3, v80, v22, 0x5040100
	v_perm_b32 v6, v77, v16, 0x5040100
	;; [unrolled: 1-line block ×5, first 2 shown]
	ds_write2_b32 v7, v5, v4 offset0:3 offset1:4
	ds_write2_b32 v7, v1, v0 offset0:5 offset1:6
	;; [unrolled: 1-line block ×5, first 2 shown]
.LBB0_7:
	s_or_b32 exec_lo, exec_lo, s2
	v_add_nc_u16 v1, v69, 39
	v_add_nc_u16 v3, v69, 52
	v_lshlrev_b32_e32 v0, 3, v69
	s_waitcnt lgkmcnt(0)
	s_barrier
	v_and_b32_e32 v4, 0xff, v1
	v_and_b32_e32 v6, 0xff, v3
	buffer_gl0_inv
	global_load_dwordx2 v[19:20], v0, s[0:1]
	v_add_nc_u16 v5, v69, 0x41
	v_mul_lo_u16 v4, 0x4f, v4
	v_mul_lo_u16 v6, 0x4f, v6
	v_add_nc_u16 v7, v69, 0x4e
	v_mad_u64_u32 v[42:43], null, v69, 24, s[0:1]
	v_lshrrev_b16 v4, 10, v4
	v_lshrrev_b16 v6, 10, v6
	v_and_b32_e32 v8, 0xff, v5
	v_and_b32_e32 v9, 0xff, v7
	v_mul_lo_u16 v4, v4, 13
	v_mul_lo_u16 v6, v6, 13
	;; [unrolled: 1-line block ×3, first 2 shown]
	v_sub_nc_u16 v44, v1, v4
	v_sub_nc_u16 v46, v3, v6
	v_lshlrev_b16 v3, 1, v44
	v_and_b32_e32 v44, 0xff, v44
	v_and_b32_e32 v3, 0xfe, v3
	v_lshl_add_u32 v84, v44, 2, v73
	v_lshlrev_b32_e32 v3, 2, v3
	global_load_dwordx2 v[29:30], v3, s[0:1]
	v_add_nc_u16 v0, v69, 26
	v_and_b32_e32 v2, 0xff, v0
	v_mul_lo_u16 v2, 0x4f, v2
	v_lshrrev_b16 v2, 10, v2
	v_mul_lo_u16 v2, v2, 13
	v_sub_nc_u16 v21, v0, v2
	v_lshrrev_b16 v2, 10, v8
	v_mul_lo_u16 v0, 0x4f, v9
	v_lshlrev_b16 v1, 1, v21
	v_mul_lo_u16 v2, v2, 13
	v_lshrrev_b16 v0, 10, v0
	v_and_b32_e32 v21, 0xff, v21
	v_and_b32_e32 v1, 0xfe, v1
	v_sub_nc_u16 v47, v5, v2
	v_lshlrev_b16 v2, 1, v46
	v_mul_lo_u16 v0, v0, 13
	v_and_b32_e32 v46, 0xff, v46
	v_lshlrev_b32_e32 v1, 2, v1
	v_lshl_add_u32 v85, v21, 2, v73
	v_and_b32_e32 v2, 0xfe, v2
	v_sub_nc_u16 v48, v7, v0
	v_lshlrev_b16 v0, 1, v47
	global_load_dwordx2 v[31:32], v1, s[0:1]
	v_and_b32_e32 v47, 0xff, v47
	v_lshlrev_b32_e32 v2, 2, v2
	v_lshl_add_u32 v83, v46, 2, v73
	v_and_b32_e32 v0, 0xfe, v0
	v_lshl_add_u32 v82, v47, 2, v73
	global_load_dwordx2 v[27:28], v2, s[0:1]
	v_lshlrev_b16 v1, 1, v48
	v_lshlrev_b32_e32 v0, 2, v0
	v_and_b32_e32 v48, 0xff, v48
	v_and_b32_e32 v1, 0xfe, v1
	v_lshl_add_u32 v81, v48, 2, v73
	v_lshlrev_b32_e32 v1, 2, v1
	s_clause 0x1
	global_load_dwordx2 v[25:26], v0, s[0:1]
	global_load_dwordx2 v[23:24], v1, s[0:1]
	ds_read2_b32 v[0:1], v57 offset1:13
	ds_read2_b32 v[2:3], v57 offset0:78 offset1:91
	ds_read2_b32 v[4:5], v57 offset0:182 offset1:195
	;; [unrolled: 1-line block ×9, first 2 shown]
	ds_read_b32 v49, v57 offset:1040
	s_waitcnt vmcnt(0) lgkmcnt(0)
	s_barrier
	buffer_gl0_inv
	s_add_u32 s0, s16, 0x444
	s_addc_u32 s1, s17, 0
	v_lshrrev_b32_e32 v50, 16, v0
	v_lshrrev_b32_e32 v51, 16, v3
	;; [unrolled: 1-line block ×21, first 2 shown]
	v_mul_f16_sdwa v21, v51, v19 dst_sel:DWORD dst_unused:UNUSED_PAD src0_sel:DWORD src1_sel:WORD_1
	v_mul_f16_sdwa v44, v3, v19 dst_sel:DWORD dst_unused:UNUSED_PAD src0_sel:DWORD src1_sel:WORD_1
	;; [unrolled: 1-line block ×8, first 2 shown]
	v_fma_f16 v3, v3, v19, -v21
	v_fmac_f16_e32 v44, v51, v19
	v_fma_f16 v4, v4, v20, -v46
	v_fmac_f16_e32 v47, v52, v20
	;; [unrolled: 2-line block ×4, first 2 shown]
	v_add_f16_e32 v46, v3, v4
	v_sub_f16_e32 v48, v44, v47
	v_add_f16_e32 v51, v50, v44
	v_add_f16_e32 v44, v44, v47
	;; [unrolled: 1-line block ×3, first 2 shown]
	v_sub_f16_e32 v55, v100, v102
	v_add_f16_e32 v101, v53, v100
	v_add_f16_e32 v100, v100, v102
	;; [unrolled: 1-line block ×3, first 2 shown]
	v_sub_f16_e32 v3, v3, v4
	v_fma_f16 v0, -0.5, v46, v0
	v_fmac_f16_e32 v50, -0.5, v44
	v_add_f16_e32 v52, v1, v6
	v_sub_f16_e32 v6, v6, v5
	v_fmac_f16_e32 v1, -0.5, v54
	v_fmac_f16_e32 v53, -0.5, v100
	v_add_f16_e32 v4, v21, v4
	v_add_f16_e32 v21, v51, v47
	v_fmamk_f16 v46, v48, 0x3aee, v0
	v_fmamk_f16 v47, v3, 0xbaee, v50
	v_add_f16_e32 v5, v52, v5
	v_add_f16_e32 v44, v101, v102
	v_fmac_f16_e32 v0, 0xbaee, v48
	v_fmac_f16_e32 v50, 0x3aee, v3
	v_fmamk_f16 v3, v55, 0x3aee, v1
	v_fmac_f16_e32 v1, 0xbaee, v55
	v_fmamk_f16 v48, v6, 0xbaee, v53
	v_fmac_f16_e32 v53, 0x3aee, v6
	v_pack_b32_f16 v4, v4, v21
	v_pack_b32_f16 v6, v46, v47
	;; [unrolled: 1-line block ×6, first 2 shown]
	ds_write2_b32 v57, v4, v6 offset1:13
	ds_write2_b32 v57, v0, v5 offset0:26 offset1:39
	ds_write2_b32 v57, v3, v1 offset0:52 offset1:65
	v_mul_f16_sdwa v5, v89, v29 dst_sel:DWORD dst_unused:UNUSED_PAD src0_sel:DWORD src1_sel:WORD_1
	v_mul_f16_sdwa v6, v33, v29 dst_sel:DWORD dst_unused:UNUSED_PAD src0_sel:DWORD src1_sel:WORD_1
	;; [unrolled: 1-line block ×4, first 2 shown]
	v_fma_f16 v5, v33, v29, -v5
	v_fmac_f16_e32 v6, v89, v29
	v_fmac_f16_e32 v44, v90, v30
	v_mul_f16_sdwa v0, v86, v31 dst_sel:DWORD dst_unused:UNUSED_PAD src0_sel:DWORD src1_sel:WORD_1
	v_mul_f16_sdwa v1, v7, v31 dst_sel:DWORD dst_unused:UNUSED_PAD src0_sel:DWORD src1_sel:WORD_1
	;; [unrolled: 1-line block ×4, first 2 shown]
	v_fma_f16 v0, v7, v31, -v0
	v_fmac_f16_e32 v1, v86, v31
	v_mul_f16_sdwa v46, v92, v27 dst_sel:DWORD dst_unused:UNUSED_PAD src0_sel:DWORD src1_sel:WORD_1
	v_mul_f16_sdwa v47, v34, v27 dst_sel:DWORD dst_unused:UNUSED_PAD src0_sel:DWORD src1_sel:WORD_1
	;; [unrolled: 1-line block ×4, first 2 shown]
	v_fma_f16 v3, v10, v32, -v3
	v_fmac_f16_e32 v4, v87, v32
	v_fma_f16 v7, v11, v30, -v21
	v_fma_f16 v10, v34, v27, -v46
	v_fmac_f16_e32 v47, v92, v27
	v_fma_f16 v11, v37, v28, -v48
	v_fmac_f16_e32 v50, v93, v28
	v_add_f16_e32 v46, v56, v1
	v_add_f16_e32 v48, v9, v5
	v_add_f16_e32 v89, v91, v47
	v_mul_f16_sdwa v51, v95, v25 dst_sel:DWORD dst_unused:UNUSED_PAD src0_sel:DWORD src1_sel:WORD_1
	v_mul_f16_sdwa v52, v40, v25 dst_sel:DWORD dst_unused:UNUSED_PAD src0_sel:DWORD src1_sel:WORD_1
	;; [unrolled: 1-line block ×8, first 2 shown]
	v_fma_f16 v21, v40, v25, -v51
	v_fmac_f16_e32 v52, v95, v25
	v_fma_f16 v33, v38, v26, -v53
	v_fmac_f16_e32 v54, v96, v26
	;; [unrolled: 2-line block ×4, first 2 shown]
	v_add_f16_e32 v40, v0, v3
	v_sub_f16_e32 v41, v1, v4
	v_add_f16_e32 v1, v1, v4
	v_add_f16_e32 v49, v5, v7
	v_sub_f16_e32 v51, v6, v44
	v_add_f16_e32 v53, v88, v6
	v_add_f16_e32 v6, v6, v44
	;; [unrolled: 1-line block ×4, first 2 shown]
	v_sub_f16_e32 v87, v47, v50
	v_add_f16_e32 v47, v47, v50
	v_add_f16_e32 v92, v21, v33
	v_sub_f16_e32 v93, v52, v54
	v_add_f16_e32 v95, v94, v52
	v_add_f16_e32 v52, v52, v54
	v_add_f16_e32 v98, v34, v37
	v_sub_f16_e32 v99, v100, v102
	v_add_f16_e32 v101, v97, v100
	;; [unrolled: 4-line block ×3, first 2 shown]
	v_fma_f16 v8, -0.5, v40, v8
	v_fmac_f16_e32 v56, -0.5, v1
	v_sub_f16_e32 v5, v5, v7
	v_fmac_f16_e32 v9, -0.5, v49
	v_fmac_f16_e32 v88, -0.5, v6
	v_sub_f16_e32 v10, v10, v11
	v_sub_f16_e32 v21, v21, v33
	v_add_f16_e32 v96, v2, v34
	v_sub_f16_e32 v34, v34, v37
	v_add_f16_e32 v6, v55, v11
	v_fma_f16 v11, -0.5, v86, v35
	v_fmac_f16_e32 v91, -0.5, v47
	v_fmac_f16_e32 v36, -0.5, v92
	;; [unrolled: 1-line block ×5, first 2 shown]
	v_add_f16_e32 v3, v38, v3
	v_add_f16_e32 v4, v46, v4
	;; [unrolled: 1-line block ×7, first 2 shown]
	v_fmamk_f16 v44, v41, 0x3aee, v8
	v_fmac_f16_e32 v8, 0xbaee, v41
	v_fmamk_f16 v41, v0, 0xbaee, v56
	v_fmac_f16_e32 v56, 0x3aee, v0
	v_fmamk_f16 v0, v51, 0x3aee, v9
	v_fmamk_f16 v46, v5, 0xbaee, v88
	v_fmac_f16_e32 v9, 0xbaee, v51
	v_fmac_f16_e32 v88, 0x3aee, v5
	v_add_f16_e32 v37, v96, v37
	v_add_f16_e32 v40, v101, v102
	v_fmamk_f16 v5, v87, 0x3aee, v11
	v_fmac_f16_e32 v11, 0xbaee, v87
	v_fmamk_f16 v47, v10, 0xbaee, v91
	v_fmac_f16_e32 v91, 0x3aee, v10
	;; [unrolled: 2-line block ×6, first 2 shown]
	v_pack_b32_f16 v3, v3, v4
	v_pack_b32_f16 v4, v6, v35
	;; [unrolled: 1-line block ×15, first 2 shown]
	ds_write2_b32 v85, v3, v33 offset0:78 offset1:91
	ds_write_b32 v85, v8 offset:416
	ds_write2_b32 v84, v1, v0 offset0:117 offset1:130
	ds_write_b32 v84, v9 offset:572
	;; [unrolled: 2-line block ×5, first 2 shown]
	s_waitcnt lgkmcnt(0)
	s_barrier
	buffer_gl0_inv
	s_clause 0x5
	global_load_dwordx4 v[8:11], v[42:43], off offset:104
	global_load_dwordx2 v[37:38], v[42:43], off offset:120
	global_load_dwordx4 v[4:7], v[42:43], off offset:416
	global_load_dwordx2 v[35:36], v[42:43], off offset:432
	;; [unrolled: 2-line block ×3, first 2 shown]
	ds_read2_b32 v[40:41], v57 offset0:26 offset1:39
	ds_read2_b32 v[42:43], v57 offset0:78 offset1:91
	;; [unrolled: 1-line block ×9, first 2 shown]
	ds_read_b32 v21, v57 offset:1040
	v_lshl_add_u32 v86, v39, 2, v45
	ds_read2_b32 v[91:92], v57 offset1:13
	v_add_nc_u32_e32 v56, 0x200, v86
	s_waitcnt lgkmcnt(10)
	v_lshrrev_b32_e32 v39, 16, v41
	s_waitcnt lgkmcnt(9)
	v_lshrrev_b32_e32 v44, 16, v42
	s_waitcnt lgkmcnt(8)
	v_lshrrev_b32_e32 v93, 16, v47
	s_waitcnt lgkmcnt(7)
	v_lshrrev_b32_e32 v94, 16, v48
	s_waitcnt lgkmcnt(6)
	v_lshrrev_b32_e32 v95, 16, v51
	s_waitcnt lgkmcnt(5)
	v_lshrrev_b32_e32 v96, 16, v52
	s_waitcnt lgkmcnt(4)
	v_lshrrev_b32_e32 v97, 16, v54
	v_lshrrev_b32_e32 v98, 16, v43
	s_waitcnt lgkmcnt(3)
	v_lshrrev_b32_e32 v99, 16, v87
	v_lshrrev_b32_e32 v100, 16, v49
	s_waitcnt lgkmcnt(2)
	v_lshrrev_b32_e32 v101, 16, v89
	v_lshrrev_b32_e32 v102, 16, v53
	;; [unrolled: 1-line block ×6, first 2 shown]
	s_waitcnt lgkmcnt(1)
	v_lshrrev_b32_e32 v108, 16, v21
	v_lshrrev_b32_e32 v106, 16, v50
	s_waitcnt vmcnt(5)
	v_mul_f16_sdwa v109, v39, v8 dst_sel:DWORD dst_unused:UNUSED_PAD src0_sel:DWORD src1_sel:WORD_1
	v_mul_f16_sdwa v110, v41, v8 dst_sel:DWORD dst_unused:UNUSED_PAD src0_sel:DWORD src1_sel:WORD_1
	v_mul_f16_sdwa v111, v44, v9 dst_sel:DWORD dst_unused:UNUSED_PAD src0_sel:DWORD src1_sel:WORD_1
	v_mul_f16_sdwa v112, v42, v9 dst_sel:DWORD dst_unused:UNUSED_PAD src0_sel:DWORD src1_sel:WORD_1
	v_mul_f16_sdwa v113, v93, v10 dst_sel:DWORD dst_unused:UNUSED_PAD src0_sel:DWORD src1_sel:WORD_1
	v_mul_f16_sdwa v115, v94, v11 dst_sel:DWORD dst_unused:UNUSED_PAD src0_sel:DWORD src1_sel:WORD_1
	s_waitcnt vmcnt(4)
	v_mul_f16_sdwa v117, v95, v37 dst_sel:DWORD dst_unused:UNUSED_PAD src0_sel:DWORD src1_sel:WORD_1
	v_mul_f16_sdwa v118, v51, v37 dst_sel:DWORD dst_unused:UNUSED_PAD src0_sel:DWORD src1_sel:WORD_1
	v_mul_f16_sdwa v119, v96, v38 dst_sel:DWORD dst_unused:UNUSED_PAD src0_sel:DWORD src1_sel:WORD_1
	v_mul_f16_sdwa v120, v52, v38 dst_sel:DWORD dst_unused:UNUSED_PAD src0_sel:DWORD src1_sel:WORD_1
	v_mul_f16_sdwa v114, v47, v10 dst_sel:DWORD dst_unused:UNUSED_PAD src0_sel:DWORD src1_sel:WORD_1
	v_mul_f16_sdwa v116, v48, v11 dst_sel:DWORD dst_unused:UNUSED_PAD src0_sel:DWORD src1_sel:WORD_1
	;; [unrolled: 7-line block ×3, first 2 shown]
	v_mul_f16_sdwa v127, v100, v7 dst_sel:DWORD dst_unused:UNUSED_PAD src0_sel:DWORD src1_sel:WORD_1
	v_mul_f16_sdwa v128, v49, v7 dst_sel:DWORD dst_unused:UNUSED_PAD src0_sel:DWORD src1_sel:WORD_1
	s_waitcnt vmcnt(2)
	v_mul_f16_sdwa v129, v101, v35 dst_sel:DWORD dst_unused:UNUSED_PAD src0_sel:DWORD src1_sel:WORD_1
	v_mul_f16_sdwa v130, v89, v35 dst_sel:DWORD dst_unused:UNUSED_PAD src0_sel:DWORD src1_sel:WORD_1
	;; [unrolled: 1-line block ×4, first 2 shown]
	s_waitcnt vmcnt(1)
	v_mul_f16_sdwa v133, v103, v0 dst_sel:DWORD dst_unused:UNUSED_PAD src0_sel:DWORD src1_sel:WORD_1
	v_mul_f16_sdwa v134, v55, v0 dst_sel:DWORD dst_unused:UNUSED_PAD src0_sel:DWORD src1_sel:WORD_1
	;; [unrolled: 1-line block ×5, first 2 shown]
	s_waitcnt vmcnt(0)
	v_mul_f16_sdwa v141, v107, v33 dst_sel:DWORD dst_unused:UNUSED_PAD src0_sel:DWORD src1_sel:WORD_1
	v_mul_f16_sdwa v142, v90, v33 dst_sel:DWORD dst_unused:UNUSED_PAD src0_sel:DWORD src1_sel:WORD_1
	;; [unrolled: 1-line block ×7, first 2 shown]
	v_fma_f16 v41, v41, v8, -v109
	v_fmac_f16_e32 v110, v39, v8
	v_fma_f16 v39, v42, v9, -v111
	v_fmac_f16_e32 v112, v44, v9
	v_fma_f16 v42, v47, v10, -v113
	v_fma_f16 v44, v48, v11, -v115
	v_fma_f16 v47, v51, v37, -v117
	v_fmac_f16_e32 v118, v95, v37
	v_fma_f16 v48, v52, v38, -v119
	v_fmac_f16_e32 v120, v96, v38
	v_fmac_f16_e32 v114, v93, v10
	;; [unrolled: 1-line block ×3, first 2 shown]
	v_fma_f16 v51, v54, v4, -v121
	v_fmac_f16_e32 v122, v97, v4
	v_fma_f16 v43, v43, v5, -v123
	v_fmac_f16_e32 v124, v98, v5
	;; [unrolled: 2-line block ×8, first 2 shown]
	v_fma_f16 v87, v88, v2, -v137
	v_fma_f16 v88, v90, v33, -v141
	v_fmac_f16_e32 v142, v107, v33
	v_fma_f16 v21, v21, v34, -v143
	v_fmac_f16_e32 v144, v108, v34
	v_fmac_f16_e32 v138, v105, v2
	v_fma_f16 v50, v50, v3, -v139
	v_fmac_f16_e32 v140, v106, v3
	v_add_f16_e32 v89, v41, v48
	v_add_f16_e32 v90, v110, v120
	;; [unrolled: 1-line block ×4, first 2 shown]
	v_sub_f16_e32 v41, v41, v48
	v_sub_f16_e32 v48, v110, v120
	;; [unrolled: 1-line block ×4, first 2 shown]
	v_add_f16_e32 v95, v42, v44
	v_add_f16_e32 v96, v114, v116
	v_sub_f16_e32 v42, v44, v42
	v_sub_f16_e32 v44, v116, v114
	v_add_f16_e32 v97, v51, v53
	v_add_f16_e32 v98, v122, v132
	v_sub_f16_e32 v51, v51, v53
	v_sub_f16_e32 v53, v122, v132
	;; [unrolled: 4-line block ×4, first 2 shown]
	v_add_f16_e32 v103, v55, v21
	v_add_f16_e32 v104, v134, v144
	;; [unrolled: 1-line block ×4, first 2 shown]
	v_sub_f16_e32 v21, v55, v21
	v_sub_f16_e32 v55, v134, v144
	;; [unrolled: 1-line block ×4, first 2 shown]
	v_add_f16_e32 v107, v87, v50
	v_sub_f16_e32 v50, v50, v87
	v_sub_f16_e32 v87, v140, v138
	v_add_f16_e32 v109, v93, v89
	v_add_f16_e32 v110, v94, v90
	;; [unrolled: 1-line block ×3, first 2 shown]
	v_sub_f16_e32 v111, v93, v89
	v_sub_f16_e32 v112, v94, v90
	;; [unrolled: 1-line block ×6, first 2 shown]
	v_add_f16_e32 v113, v42, v39
	v_add_f16_e32 v114, v44, v47
	v_sub_f16_e32 v115, v42, v39
	v_sub_f16_e32 v116, v44, v47
	v_sub_f16_e32 v39, v39, v41
	v_sub_f16_e32 v47, v47, v48
	v_add_f16_e32 v117, v99, v97
	v_add_f16_e32 v118, v100, v98
	v_sub_f16_e32 v119, v99, v97
	v_sub_f16_e32 v120, v100, v98
	v_sub_f16_e32 v99, v101, v99
	v_sub_f16_e32 v100, v102, v100
	;; [unrolled: 6-line block ×3, first 2 shown]
	v_add_f16_e32 v125, v105, v103
	v_add_f16_e32 v126, v106, v104
	v_sub_f16_e32 v98, v98, v102
	v_add_f16_e32 v129, v50, v46
	v_add_f16_e32 v130, v87, v88
	v_sub_f16_e32 v131, v50, v46
	v_sub_f16_e32 v132, v87, v88
	v_sub_f16_e32 v46, v46, v21
	v_sub_f16_e32 v88, v88, v55
	v_add_f16_e32 v95, v95, v109
	v_add_f16_e32 v96, v96, v110
	v_sub_f16_e32 v42, v41, v42
	v_sub_f16_e32 v44, v48, v44
	;; [unrolled: 1-line block ×11, first 2 shown]
	v_add_f16_e32 v41, v113, v41
	v_add_f16_e32 v48, v114, v48
	v_mul_f16_e32 v89, 0x3a52, v89
	v_mul_f16_e32 v90, 0x3a52, v90
	v_mul_f16_e32 v109, 0x2b26, v93
	v_mul_f16_e32 v110, 0x2b26, v94
	v_mul_f16_e32 v113, 0xb846, v115
	v_mul_f16_e32 v114, 0xb846, v116
	v_mul_f16_e32 v115, 0x3b00, v39
	v_mul_f16_e32 v116, 0x3b00, v47
	v_add_f16_e32 v101, v101, v117
	v_add_f16_e32 v102, v102, v118
	;; [unrolled: 1-line block ×4, first 2 shown]
	v_mul_f16_e32 v117, 0x2b26, v99
	v_mul_f16_e32 v118, 0x2b26, v100
	;; [unrolled: 1-line block ×6, first 2 shown]
	v_add_f16_e32 v107, v107, v125
	v_add_f16_e32 v108, v108, v126
	v_sub_f16_e32 v50, v21, v50
	v_sub_f16_e32 v87, v55, v87
	v_mul_f16_e32 v98, 0x3a52, v98
	v_add_f16_e32 v21, v129, v21
	v_add_f16_e32 v55, v130, v55
	v_mul_f16_e32 v129, 0xb846, v131
	v_mul_f16_e32 v130, 0xb846, v132
	;; [unrolled: 1-line block ×4, first 2 shown]
	s_waitcnt lgkmcnt(0)
	v_add_f16_e32 v133, v91, v95
	v_add_f16_sdwa v91, v91, v96 dst_sel:DWORD dst_unused:UNUSED_PAD src0_sel:WORD_1 src1_sel:DWORD
	v_mul_f16_e32 v97, 0x3a52, v97
	v_mul_f16_e32 v103, 0x3a52, v103
	;; [unrolled: 1-line block ×5, first 2 shown]
	v_fmamk_f16 v93, v93, 0x2b26, v89
	v_fmamk_f16 v94, v94, 0x2b26, v90
	v_fma_f16 v109, v111, 0x39e0, -v109
	v_fma_f16 v110, v112, 0x39e0, -v110
	;; [unrolled: 1-line block ×4, first 2 shown]
	v_fmamk_f16 v112, v42, 0x3574, v113
	v_fmamk_f16 v134, v44, 0x3574, v114
	v_fma_f16 v113, v39, 0x3b00, -v113
	v_fma_f16 v47, v47, 0x3b00, -v114
	;; [unrolled: 1-line block ×4, first 2 shown]
	v_add_f16_e32 v114, v92, v101
	v_add_f16_sdwa v92, v92, v102 dst_sel:DWORD dst_unused:UNUSED_PAD src0_sel:WORD_1 src1_sel:DWORD
	v_fma_f16 v115, v119, 0x39e0, -v117
	v_fma_f16 v116, v120, 0x39e0, -v118
	v_fmamk_f16 v117, v49, 0x3574, v121
	v_fmamk_f16 v118, v52, 0x3574, v122
	v_fma_f16 v43, v43, 0x3b00, -v121
	v_fma_f16 v54, v54, 0x3b00, -v122
	;; [unrolled: 1-line block ×4, first 2 shown]
	v_add_f16_e32 v39, v40, v107
	v_add_f16_sdwa v89, v40, v108 dst_sel:DWORD dst_unused:UNUSED_PAD src0_sel:WORD_1 src1_sel:DWORD
	v_fmamk_f16 v100, v100, 0x2b26, v98
	v_fma_f16 v98, v120, 0xb9e0, -v98
	v_fmamk_f16 v120, v50, 0x3574, v129
	v_fmamk_f16 v121, v87, 0x3574, v130
	v_fma_f16 v46, v46, 0x3b00, -v129
	v_fma_f16 v122, v88, 0x3b00, -v130
	;; [unrolled: 1-line block ×4, first 2 shown]
	v_fmamk_f16 v87, v95, 0xbcab, v133
	v_fmamk_f16 v88, v96, 0xbcab, v91
	;; [unrolled: 1-line block ×3, first 2 shown]
	v_fma_f16 v97, v119, 0xb9e0, -v97
	v_fmamk_f16 v40, v105, 0x2b26, v103
	v_fmamk_f16 v105, v106, 0x2b26, v104
	v_fma_f16 v106, v127, 0x39e0, -v125
	v_fma_f16 v119, v128, 0x39e0, -v126
	;; [unrolled: 1-line block ×4, first 2 shown]
	v_fmac_f16_e32 v112, 0x370e, v41
	v_fmac_f16_e32 v134, 0x370e, v48
	;; [unrolled: 1-line block ×6, first 2 shown]
	v_fmamk_f16 v41, v101, 0xbcab, v114
	v_fmamk_f16 v48, v102, 0xbcab, v92
	v_fmac_f16_e32 v117, 0x370e, v51
	v_fmac_f16_e32 v118, 0x370e, v53
	;; [unrolled: 1-line block ×6, first 2 shown]
	v_fmamk_f16 v51, v107, 0xbcab, v39
	v_fmamk_f16 v53, v108, 0xbcab, v89
	v_fmac_f16_e32 v120, 0x370e, v21
	v_fmac_f16_e32 v121, 0x370e, v55
	;; [unrolled: 1-line block ×6, first 2 shown]
	v_pack_b32_f16 v55, v133, v91
	v_add_f16_e32 v21, v93, v87
	v_add_f16_e32 v91, v94, v88
	v_pack_b32_f16 v96, v114, v92
	v_add_f16_e32 v92, v109, v87
	v_add_f16_e32 v93, v110, v88
	;; [unrolled: 1-line block ×17, first 2 shown]
	v_sub_f16_e32 v104, v91, v112
	v_add_f16_e32 v105, v44, v87
	v_sub_f16_e32 v106, v88, v42
	v_sub_f16_e32 v107, v92, v47
	v_add_f16_e32 v108, v113, v93
	v_add_f16_e32 v47, v47, v92
	v_sub_f16_e32 v109, v93, v113
	v_sub_f16_e32 v110, v87, v44
	v_add_f16_e32 v111, v42, v88
	v_sub_f16_e32 v113, v21, v134
	v_add_f16_e32 v112, v112, v91
	v_add_f16_e32 v114, v118, v90
	v_sub_f16_e32 v115, v94, v117
	v_add_f16_e32 v116, v52, v41
	v_sub_f16_e32 v119, v48, v49
	v_sub_f16_e32 v124, v95, v54
	v_add_f16_e32 v125, v43, v99
	v_add_f16_e32 v54, v54, v95
	v_sub_f16_e32 v99, v99, v43
	v_sub_f16_e32 v52, v41, v52
	;; [unrolled: 1-line block ×3, first 2 shown]
	v_add_f16_e32 v88, v117, v94
	v_add_f16_e32 v40, v121, v97
	v_sub_f16_e32 v95, v98, v120
	v_add_f16_e32 v41, v123, v51
	v_sub_f16_e32 v94, v53, v50
	v_sub_f16_e32 v42, v100, v122
	v_add_f16_e32 v93, v46, v102
	v_add_f16_e32 v43, v122, v100
	v_sub_f16_e32 v92, v102, v46
	v_sub_f16_e32 v44, v51, v123
	v_add_f16_e32 v91, v50, v53
	v_sub_f16_e32 v21, v97, v121
	v_add_f16_e32 v90, v120, v98
	v_add_f16_e32 v48, v49, v48
	v_pack_b32_f16 v46, v103, v104
	v_pack_b32_f16 v49, v105, v106
	;; [unrolled: 1-line block ×19, first 2 shown]
	ds_write_b32 v57, v46 offset:156
	ds_write_b32 v57, v49 offset:312
	ds_write_b32 v57, v50 offset:468
	ds_write_b32 v57, v47 offset:624
	ds_write_b32 v57, v51 offset:780
	ds_write_b32 v57, v53 offset:936
	ds_write2_b32 v57, v55, v96 offset1:13
	ds_write_b32 v57, v97 offset:208
	ds_write_b32 v57, v98 offset:364
	;; [unrolled: 1-line block ×7, first 2 shown]
	ds_write2_b32 v86, v99, v102 offset0:65 offset1:104
	ds_write2_b32 v86, v103, v104 offset0:143 offset1:182
	;; [unrolled: 1-line block ×3, first 2 shown]
	s_waitcnt lgkmcnt(0)
	s_barrier
	buffer_gl0_inv
	s_clause 0xc
	global_load_dword v56, v[12:13], off offset:1092
	global_load_dword v98, v45, s[0:1] offset:84
	global_load_dword v99, v45, s[0:1] offset:168
	global_load_dword v100, v45, s[0:1] offset:252
	global_load_dword v101, v45, s[0:1] offset:336
	global_load_dword v102, v45, s[0:1] offset:420
	global_load_dword v103, v45, s[0:1] offset:504
	global_load_dword v104, v45, s[0:1] offset:588
	global_load_dword v105, v45, s[0:1] offset:672
	global_load_dword v106, v45, s[0:1] offset:756
	global_load_dword v107, v45, s[0:1] offset:840
	global_load_dword v108, v45, s[0:1] offset:924
	global_load_dword v109, v45, s[0:1] offset:1008
	ds_read2_b32 v[46:47], v57 offset1:21
	ds_read2_b32 v[48:49], v57 offset0:42 offset1:63
	ds_read2_b32 v[50:51], v57 offset0:84 offset1:105
	;; [unrolled: 1-line block ×5, first 2 shown]
	ds_read_b32 v110, v57 offset:1008
	s_waitcnt lgkmcnt(6)
	v_lshrrev_b32_e32 v111, 16, v46
	v_lshrrev_b32_e32 v112, 16, v47
	s_waitcnt lgkmcnt(5)
	v_lshrrev_b32_e32 v113, 16, v48
	v_lshrrev_b32_e32 v114, 16, v49
	;; [unrolled: 3-line block ×6, first 2 shown]
	s_waitcnt lgkmcnt(0)
	v_lshrrev_b32_e32 v123, 16, v110
	s_waitcnt vmcnt(12)
	v_mul_f16_sdwa v124, v111, v56 dst_sel:DWORD dst_unused:UNUSED_PAD src0_sel:DWORD src1_sel:WORD_1
	v_mul_f16_sdwa v125, v46, v56 dst_sel:DWORD dst_unused:UNUSED_PAD src0_sel:DWORD src1_sel:WORD_1
	s_waitcnt vmcnt(11)
	v_mul_f16_sdwa v126, v112, v98 dst_sel:DWORD dst_unused:UNUSED_PAD src0_sel:DWORD src1_sel:WORD_1
	v_mul_f16_sdwa v127, v47, v98 dst_sel:DWORD dst_unused:UNUSED_PAD src0_sel:DWORD src1_sel:WORD_1
	s_waitcnt vmcnt(10)
	v_mul_f16_sdwa v128, v113, v99 dst_sel:DWORD dst_unused:UNUSED_PAD src0_sel:DWORD src1_sel:WORD_1
	v_mul_f16_sdwa v129, v48, v99 dst_sel:DWORD dst_unused:UNUSED_PAD src0_sel:DWORD src1_sel:WORD_1
	s_waitcnt vmcnt(9)
	v_mul_f16_sdwa v130, v114, v100 dst_sel:DWORD dst_unused:UNUSED_PAD src0_sel:DWORD src1_sel:WORD_1
	v_mul_f16_sdwa v131, v49, v100 dst_sel:DWORD dst_unused:UNUSED_PAD src0_sel:DWORD src1_sel:WORD_1
	s_waitcnt vmcnt(8)
	v_mul_f16_sdwa v132, v115, v101 dst_sel:DWORD dst_unused:UNUSED_PAD src0_sel:DWORD src1_sel:WORD_1
	v_mul_f16_sdwa v133, v50, v101 dst_sel:DWORD dst_unused:UNUSED_PAD src0_sel:DWORD src1_sel:WORD_1
	s_waitcnt vmcnt(7)
	v_mul_f16_sdwa v134, v116, v102 dst_sel:DWORD dst_unused:UNUSED_PAD src0_sel:DWORD src1_sel:WORD_1
	v_mul_f16_sdwa v135, v51, v102 dst_sel:DWORD dst_unused:UNUSED_PAD src0_sel:DWORD src1_sel:WORD_1
	s_waitcnt vmcnt(6)
	v_mul_f16_sdwa v136, v117, v103 dst_sel:DWORD dst_unused:UNUSED_PAD src0_sel:DWORD src1_sel:WORD_1
	v_mul_f16_sdwa v137, v52, v103 dst_sel:DWORD dst_unused:UNUSED_PAD src0_sel:DWORD src1_sel:WORD_1
	s_waitcnt vmcnt(5)
	v_mul_f16_sdwa v138, v118, v104 dst_sel:DWORD dst_unused:UNUSED_PAD src0_sel:DWORD src1_sel:WORD_1
	v_mul_f16_sdwa v139, v53, v104 dst_sel:DWORD dst_unused:UNUSED_PAD src0_sel:DWORD src1_sel:WORD_1
	s_waitcnt vmcnt(4)
	v_mul_f16_sdwa v140, v119, v105 dst_sel:DWORD dst_unused:UNUSED_PAD src0_sel:DWORD src1_sel:WORD_1
	v_mul_f16_sdwa v141, v54, v105 dst_sel:DWORD dst_unused:UNUSED_PAD src0_sel:DWORD src1_sel:WORD_1
	s_waitcnt vmcnt(3)
	v_mul_f16_sdwa v142, v120, v106 dst_sel:DWORD dst_unused:UNUSED_PAD src0_sel:DWORD src1_sel:WORD_1
	v_mul_f16_sdwa v143, v55, v106 dst_sel:DWORD dst_unused:UNUSED_PAD src0_sel:DWORD src1_sel:WORD_1
	s_waitcnt vmcnt(2)
	v_mul_f16_sdwa v144, v121, v107 dst_sel:DWORD dst_unused:UNUSED_PAD src0_sel:DWORD src1_sel:WORD_1
	v_mul_f16_sdwa v145, v96, v107 dst_sel:DWORD dst_unused:UNUSED_PAD src0_sel:DWORD src1_sel:WORD_1
	s_waitcnt vmcnt(1)
	v_mul_f16_sdwa v146, v122, v108 dst_sel:DWORD dst_unused:UNUSED_PAD src0_sel:DWORD src1_sel:WORD_1
	v_mul_f16_sdwa v147, v97, v108 dst_sel:DWORD dst_unused:UNUSED_PAD src0_sel:DWORD src1_sel:WORD_1
	s_waitcnt vmcnt(0)
	v_mul_f16_sdwa v148, v123, v109 dst_sel:DWORD dst_unused:UNUSED_PAD src0_sel:DWORD src1_sel:WORD_1
	v_mul_f16_sdwa v149, v110, v109 dst_sel:DWORD dst_unused:UNUSED_PAD src0_sel:DWORD src1_sel:WORD_1
	v_fma_f16 v46, v46, v56, -v124
	v_fmac_f16_e32 v125, v111, v56
	v_fma_f16 v47, v47, v98, -v126
	v_fmac_f16_e32 v127, v112, v98
	;; [unrolled: 2-line block ×13, first 2 shown]
	v_pack_b32_f16 v46, v46, v125
	v_pack_b32_f16 v47, v47, v127
	;; [unrolled: 1-line block ×13, first 2 shown]
	ds_write2_b32 v57, v46, v47 offset1:21
	ds_write2_b32 v57, v48, v49 offset0:42 offset1:63
	ds_write2_b32 v57, v50, v51 offset0:84 offset1:105
	;; [unrolled: 1-line block ×5, first 2 shown]
	ds_write_b32 v57, v97 offset:1008
	s_and_saveexec_b32 s2, vcc_lo
	s_cbranch_execz .LBB0_9
; %bb.8:
	v_add_co_u32 v45, s0, s0, v45
	v_add_co_ci_u32_e64 v46, null, s1, 0, s0
	s_clause 0xc
	global_load_dword v96, v[45:46], off offset:52
	global_load_dword v97, v[45:46], off offset:136
	;; [unrolled: 1-line block ×13, first 2 shown]
	ds_read2_b32 v[45:46], v57 offset0:13 offset1:34
	ds_read2_b32 v[47:48], v57 offset0:55 offset1:76
	ds_read2_b32 v[49:50], v57 offset0:97 offset1:118
	ds_read2_b32 v[51:52], v57 offset0:139 offset1:160
	ds_read2_b32 v[53:54], v57 offset0:181 offset1:202
	ds_read2_b32 v[55:56], v57 offset0:223 offset1:244
	ds_read_b32 v109, v57 offset:1060
	s_waitcnt lgkmcnt(6)
	v_lshrrev_b32_e32 v110, 16, v45
	v_lshrrev_b32_e32 v111, 16, v46
	s_waitcnt lgkmcnt(5)
	v_lshrrev_b32_e32 v112, 16, v47
	v_lshrrev_b32_e32 v113, 16, v48
	;; [unrolled: 3-line block ×6, first 2 shown]
	s_waitcnt lgkmcnt(0)
	v_lshrrev_b32_e32 v122, 16, v109
	s_waitcnt vmcnt(12)
	v_mul_f16_sdwa v123, v110, v96 dst_sel:DWORD dst_unused:UNUSED_PAD src0_sel:DWORD src1_sel:WORD_1
	v_mul_f16_sdwa v124, v45, v96 dst_sel:DWORD dst_unused:UNUSED_PAD src0_sel:DWORD src1_sel:WORD_1
	s_waitcnt vmcnt(11)
	v_mul_f16_sdwa v125, v111, v97 dst_sel:DWORD dst_unused:UNUSED_PAD src0_sel:DWORD src1_sel:WORD_1
	v_mul_f16_sdwa v126, v46, v97 dst_sel:DWORD dst_unused:UNUSED_PAD src0_sel:DWORD src1_sel:WORD_1
	;; [unrolled: 3-line block ×13, first 2 shown]
	v_fma_f16 v45, v45, v96, -v123
	v_fmac_f16_e32 v124, v110, v96
	v_fma_f16 v46, v46, v97, -v125
	v_fmac_f16_e32 v126, v111, v97
	;; [unrolled: 2-line block ×13, first 2 shown]
	v_pack_b32_f16 v45, v45, v124
	v_pack_b32_f16 v46, v46, v126
	;; [unrolled: 1-line block ×13, first 2 shown]
	ds_write2_b32 v57, v45, v46 offset0:13 offset1:34
	ds_write2_b32 v57, v47, v48 offset0:55 offset1:76
	;; [unrolled: 1-line block ×6, first 2 shown]
	ds_write_b32 v57, v96 offset:1060
.LBB0_9:
	s_or_b32 exec_lo, exec_lo, s2
	s_waitcnt lgkmcnt(0)
	s_barrier
	buffer_gl0_inv
	ds_read2_b32 v[45:46], v57 offset1:21
	ds_read2_b32 v[53:54], v57 offset0:42 offset1:63
	ds_read2_b32 v[49:50], v57 offset0:84 offset1:105
	;; [unrolled: 1-line block ×5, first 2 shown]
	ds_read_b32 v99, v57 offset:1008
	s_and_saveexec_b32 s0, vcc_lo
	s_cbranch_execz .LBB0_11
; %bb.10:
	v_lshl_add_u32 v15, v69, 2, v73
	ds_read_b32 v87, v57 offset:52
	ds_read2_b32 v[39:40], v15 offset0:34 offset1:55
	ds_read2_b32 v[41:42], v15 offset0:76 offset1:97
	;; [unrolled: 1-line block ×3, first 2 shown]
	v_add_nc_u32_e32 v17, 0x200, v15
	ds_read2_b32 v[21:22], v15 offset0:160 offset1:181
	ds_read2_b32 v[15:16], v15 offset0:202 offset1:223
	;; [unrolled: 1-line block ×3, first 2 shown]
	s_waitcnt lgkmcnt(6)
	v_lshrrev_b32_e32 v88, 16, v87
	s_waitcnt lgkmcnt(5)
	v_lshrrev_b32_e32 v89, 16, v39
	v_lshrrev_b32_e32 v95, 16, v40
	s_waitcnt lgkmcnt(4)
	v_lshrrev_b32_e32 v94, 16, v41
	;; [unrolled: 3-line block ×6, first 2 shown]
	v_lshrrev_b32_e32 v78, 16, v18
.LBB0_11:
	s_or_b32 exec_lo, exec_lo, s0
	s_waitcnt lgkmcnt(6)
	v_pk_add_f16 v96, v45, v46
	s_waitcnt lgkmcnt(0)
	v_pk_add_f16 v98, v99, v46
	v_pk_add_f16 v46, v46, v99 neg_lo:[0,1] neg_hi:[0,1]
	v_pk_add_f16 v123, v53, v56 neg_lo:[0,1] neg_hi:[0,1]
	v_mov_b32_e32 v101, 0x388b
	v_pk_add_f16 v96, v96, v53
	v_pk_add_f16 v126, v56, v53
	v_pk_mul_f16 v97, 0xb770, v46 op_sel_hi:[0,1]
	v_mov_b32_e32 v100, 0xba95
	v_mov_b32_e32 v105, 0xb5ac
	v_pk_add_f16 v96, v96, v54
	v_mul_f16_sdwa v109, v98, v101 dst_sel:DWORD dst_unused:UNUSED_PAD src0_sel:WORD_1 src1_sel:DWORD
	v_mov_b32_e32 v103, 0x2fb7
	v_mov_b32_e32 v104, 0xbb7b
	v_mul_f16_sdwa v108, v46, v100 dst_sel:DWORD dst_unused:UNUSED_PAD src0_sel:WORD_1 src1_sel:DWORD
	v_pk_add_f16 v96, v96, v49
	v_fmamk_f16 v116, v46, 0x3a95, v109
	v_mul_f16_sdwa v128, v126, v105 dst_sel:DWORD dst_unused:UNUSED_PAD src0_sel:WORD_1 src1_sel:DWORD
	v_mov_b32_e32 v102, 0xbbf1
	v_mul_f16_sdwa v111, v98, v103 dst_sel:DWORD dst_unused:UNUSED_PAD src0_sel:WORD_1 src1_sel:DWORD
	v_pk_add_f16 v96, v96, v50
	v_fmamk_f16 v115, v98, 0x388b, v108
	v_fma_f16 v108, v98, 0x388b, -v108
	v_fmac_f16_e32 v109, 0xba95, v46
	v_add_f16_sdwa v116, v45, v116 dst_sel:DWORD dst_unused:UNUSED_PAD src0_sel:WORD_1 src1_sel:DWORD
	v_pk_add_f16 v113, v96, v47
	v_pk_fma_f16 v96, 0x3b15, v98, v97 op_sel:[0,0,1] op_sel_hi:[0,1,0]
	v_pk_fma_f16 v97, 0x3b15, v98, v97 op_sel:[0,0,1] op_sel_hi:[0,1,0] neg_lo:[0,0,1] neg_hi:[0,0,1]
	v_mul_f16_sdwa v127, v123, v104 dst_sel:DWORD dst_unused:UNUSED_PAD src0_sel:WORD_1 src1_sel:DWORD
	v_fmamk_f16 v132, v123, 0x3b7b, v128
	v_pk_add_f16 v113, v113, v48
	v_mul_f16_sdwa v110, v46, v102 dst_sel:DWORD dst_unused:UNUSED_PAD src0_sel:WORD_1 src1_sel:DWORD
	v_bfi_b32 v121, 0xffff, v96, v97
	v_mul_f16_sdwa v112, v46, v104 dst_sel:DWORD dst_unused:UNUSED_PAD src0_sel:WORD_1 src1_sel:DWORD
	v_fmamk_f16 v118, v46, 0x3bf1, v111
	v_pk_add_f16 v113, v113, v51
	v_add_f16_e32 v115, v45, v115
	v_pk_add_f16 v121, v45, v121
	v_add_f16_e32 v108, v45, v108
	v_add_f16_sdwa v109, v45, v109 dst_sel:DWORD dst_unused:UNUSED_PAD src0_sel:WORD_1 src1_sel:DWORD
	v_pk_add_f16 v113, v113, v52
	v_fmamk_f16 v130, v126, 0xb5ac, v127
	v_mov_b32_e32 v131, 0xb3a8
	v_add_f16_e32 v116, v132, v116
	v_fma_f16 v127, v126, 0xb5ac, -v127
	v_pk_add_f16 v113, v113, v55
	v_fmac_f16_e32 v128, 0xbb7b, v123
	v_mov_b32_e32 v134, 0x394e
	v_mul_f16_sdwa v114, v98, v105 dst_sel:DWORD dst_unused:UNUSED_PAD src0_sel:WORD_1 src1_sel:DWORD
	v_fmamk_f16 v117, v98, 0x2fb7, v110
	v_pk_add_f16 v113, v113, v56
	v_pk_mul_f16 v56, 0xba95, v123 op_sel_hi:[0,1]
	v_fmamk_f16 v119, v98, 0xb5ac, v112
	v_add_f16_sdwa v118, v45, v118 dst_sel:DWORD dst_unused:UNUSED_PAD src0_sel:WORD_1 src1_sel:DWORD
	v_add_f16_e32 v115, v130, v115
	v_mul_f16_sdwa v130, v123, v131 dst_sel:DWORD dst_unused:UNUSED_PAD src0_sel:WORD_1 src1_sel:DWORD
	v_pk_fma_f16 v53, 0x388b, v126, v56 op_sel:[0,0,1] op_sel_hi:[0,1,0]
	v_pk_fma_f16 v56, 0x388b, v126, v56 op_sel:[0,0,1] op_sel_hi:[0,1,0] neg_lo:[0,0,1] neg_hi:[0,0,1]
	v_add_f16_e32 v108, v127, v108
	v_add_f16_e32 v109, v128, v109
	v_mul_f16_sdwa v128, v123, v134 dst_sel:DWORD dst_unused:UNUSED_PAD src0_sel:WORD_1 src1_sel:DWORD
	v_mov_b32_e32 v106, 0xb94e
	v_bfi_b32 v129, 0xffff, v53, v56
	v_mov_b32_e32 v107, 0xb9fd
	v_fma_f16 v110, v98, 0x2fb7, -v110
	v_fmamk_f16 v120, v46, 0x3b7b, v114
	v_fma_f16 v112, v98, 0xb5ac, -v112
	v_pk_add_f16 v121, v129, v121
	v_mov_b32_e32 v129, 0xbbc4
	v_add_f16_e32 v117, v45, v117
	v_pk_add_f16 v99, v113, v99
	v_add_f16_e32 v113, v45, v119
	v_fmamk_f16 v133, v126, 0xbbc4, v130
	v_mul_f16_sdwa v132, v126, v129 dst_sel:DWORD dst_unused:UNUSED_PAD src0_sel:WORD_1 src1_sel:DWORD
	v_fmac_f16_e32 v111, 0xbbf1, v46
	v_add_f16_e32 v110, v45, v110
	v_add_f16_sdwa v119, v45, v120 dst_sel:DWORD dst_unused:UNUSED_PAD src0_sel:WORD_1 src1_sel:DWORD
	v_mul_f16_sdwa v120, v46, v106 dst_sel:DWORD dst_unused:UNUSED_PAD src0_sel:WORD_1 src1_sel:DWORD
	v_fmamk_f16 v127, v123, 0x33a8, v132
	v_add_f16_e32 v112, v45, v112
	v_add_f16_e32 v117, v133, v117
	v_fma_f16 v130, v126, 0xbbc4, -v130
	v_mul_f16_sdwa v133, v126, v107 dst_sel:DWORD dst_unused:UNUSED_PAD src0_sel:WORD_1 src1_sel:DWORD
	v_add_f16_e32 v118, v127, v118
	v_fmamk_f16 v127, v126, 0xb9fd, v128
	v_mov_b32_e32 v135, 0x3bf1
	v_add_f16_sdwa v111, v45, v111 dst_sel:DWORD dst_unused:UNUSED_PAD src0_sel:WORD_1 src1_sel:DWORD
	v_mul_f16_sdwa v122, v98, v107 dst_sel:DWORD dst_unused:UNUSED_PAD src0_sel:WORD_1 src1_sel:DWORD
	v_fmac_f16_e32 v114, 0xbb7b, v46
	v_add_f16_e32 v113, v127, v113
	v_fma_f16 v127, v126, 0xb9fd, -v128
	v_fmamk_f16 v124, v98, 0xb9fd, v120
	v_fma_f16 v120, v98, 0xb9fd, -v120
	v_fmac_f16_e32 v132, 0xb3a8, v123
	v_add_f16_e32 v110, v130, v110
	v_fmamk_f16 v130, v123, 0xb94e, v133
	v_mul_f16_sdwa v128, v123, v135 dst_sel:DWORD dst_unused:UNUSED_PAD src0_sel:WORD_1 src1_sel:DWORD
	v_add_f16_e32 v112, v127, v112
	v_pk_add_f16 v127, v54, v55 neg_lo:[0,1] neg_hi:[0,1]
	v_fmamk_f16 v125, v46, 0x394e, v122
	v_add_f16_sdwa v114, v45, v114 dst_sel:DWORD dst_unused:UNUSED_PAD src0_sel:WORD_1 src1_sel:DWORD
	v_add_f16_e32 v124, v45, v124
	v_fmac_f16_e32 v122, 0xb94e, v46
	v_add_f16_e32 v120, v45, v120
	v_add_f16_e32 v111, v132, v111
	;; [unrolled: 1-line block ×3, first 2 shown]
	v_fmac_f16_e32 v133, 0x394e, v123
	v_mul_f16_sdwa v130, v126, v103 dst_sel:DWORD dst_unused:UNUSED_PAD src0_sel:WORD_1 src1_sel:DWORD
	v_fmamk_f16 v132, v126, 0x2fb7, v128
	v_pk_add_f16 v54, v55, v54
	v_pk_mul_f16 v55, 0xbbf1, v127 op_sel_hi:[0,1]
	v_fma_f16 v128, v126, 0x2fb7, -v128
	v_add_f16_sdwa v125, v45, v125 dst_sel:DWORD dst_unused:UNUSED_PAD src0_sel:WORD_1 src1_sel:DWORD
	v_add_f16_sdwa v122, v45, v122 dst_sel:DWORD dst_unused:UNUSED_PAD src0_sel:WORD_1 src1_sel:DWORD
	v_add_f16_e32 v114, v133, v114
	v_fmamk_f16 v133, v123, 0xbbf1, v130
	v_add_f16_e32 v124, v132, v124
	v_fmac_f16_e32 v130, 0x3bf1, v123
	v_pk_fma_f16 v132, 0x2fb7, v54, v55 op_sel:[0,0,1] op_sel_hi:[0,1,0]
	v_pk_fma_f16 v55, 0x2fb7, v54, v55 op_sel:[0,0,1] op_sel_hi:[0,1,0] neg_lo:[0,0,1] neg_hi:[0,0,1]
	v_add_f16_e32 v120, v128, v120
	v_mul_f16_sdwa v128, v127, v131 dst_sel:DWORD dst_unused:UNUSED_PAD src0_sel:WORD_1 src1_sel:DWORD
	v_mul_f16_sdwa v131, v54, v129 dst_sel:DWORD dst_unused:UNUSED_PAD src0_sel:WORD_1 src1_sel:DWORD
	v_add_f16_e32 v125, v133, v125
	v_add_f16_e32 v122, v130, v122
	v_bfi_b32 v130, 0xffff, v132, v55
	v_mov_b32_e32 v133, 0x3b7b
	v_fmamk_f16 v136, v54, 0xbbc4, v128
	v_fmamk_f16 v137, v127, 0x33a8, v131
	v_fma_f16 v128, v54, 0xbbc4, -v128
	v_pk_add_f16 v121, v130, v121
	v_mul_f16_sdwa v130, v127, v133 dst_sel:DWORD dst_unused:UNUSED_PAD src0_sel:WORD_1 src1_sel:DWORD
	v_add_f16_e32 v115, v136, v115
	v_add_f16_e32 v116, v137, v116
	v_fmac_f16_e32 v131, 0xb3a8, v127
	v_mul_f16_sdwa v136, v54, v105 dst_sel:DWORD dst_unused:UNUSED_PAD src0_sel:WORD_1 src1_sel:DWORD
	v_mov_b32_e32 v137, 0x3b15
	v_add_f16_e32 v108, v128, v108
	v_fmamk_f16 v128, v54, 0xb5ac, v130
	v_mov_b32_e32 v133, 0x3770
	v_add_f16_e32 v109, v131, v109
	v_fmamk_f16 v131, v127, 0xbb7b, v136
	v_mul_f16_sdwa v138, v54, v137 dst_sel:DWORD dst_unused:UNUSED_PAD src0_sel:WORD_1 src1_sel:DWORD
	v_add_f16_e32 v117, v128, v117
	v_mul_f16_sdwa v128, v127, v133 dst_sel:DWORD dst_unused:UNUSED_PAD src0_sel:WORD_1 src1_sel:DWORD
	v_fma_f16 v130, v54, 0xb5ac, -v130
	v_add_f16_e32 v118, v131, v118
	v_fmamk_f16 v131, v127, 0xb770, v138
	v_fmac_f16_e32 v136, 0x3b7b, v127
	v_fmamk_f16 v139, v54, 0x3b15, v128
	v_add_f16_e32 v110, v130, v110
	v_mul_f16_sdwa v130, v127, v100 dst_sel:DWORD dst_unused:UNUSED_PAD src0_sel:WORD_1 src1_sel:DWORD
	v_add_f16_e32 v119, v131, v119
	v_pk_add_f16 v131, v49, v52 neg_lo:[0,1] neg_hi:[0,1]
	v_add_f16_e32 v111, v136, v111
	v_add_f16_e32 v113, v139, v113
	v_fma_f16 v128, v54, 0x3b15, -v128
	v_fmamk_f16 v136, v54, 0x388b, v130
	v_mul_f16_sdwa v139, v54, v101 dst_sel:DWORD dst_unused:UNUSED_PAD src0_sel:WORD_1 src1_sel:DWORD
	v_pk_add_f16 v49, v52, v49
	v_pk_mul_f16 v52, 0xbb7b, v131 op_sel_hi:[0,1]
	v_fmac_f16_e32 v138, 0x3770, v127
	v_add_f16_e32 v112, v128, v112
	v_add_f16_e32 v124, v136, v124
	v_fmamk_f16 v128, v127, 0x3a95, v139
	v_pk_fma_f16 v136, 0xb5ac, v49, v52 op_sel:[0,0,1] op_sel_hi:[0,1,0]
	v_pk_fma_f16 v52, 0xb5ac, v49, v52 op_sel:[0,0,1] op_sel_hi:[0,1,0] neg_lo:[0,0,1] neg_hi:[0,0,1]
	v_mul_f16_sdwa v134, v131, v134 dst_sel:DWORD dst_unused:UNUSED_PAD src0_sel:WORD_1 src1_sel:DWORD
	v_fma_f16 v130, v54, 0x388b, -v130
	v_add_f16_e32 v114, v138, v114
	v_add_f16_e32 v125, v128, v125
	v_bfi_b32 v128, 0xffff, v136, v52
	v_fmamk_f16 v138, v49, 0xb9fd, v134
	v_add_f16_e32 v120, v130, v120
	v_mul_f16_sdwa v130, v49, v107 dst_sel:DWORD dst_unused:UNUSED_PAD src0_sel:WORD_1 src1_sel:DWORD
	v_fmac_f16_e32 v139, 0xba95, v127
	v_pk_add_f16 v121, v128, v121
	v_add_f16_e32 v115, v138, v115
	v_mul_f16_sdwa v128, v131, v133 dst_sel:DWORD dst_unused:UNUSED_PAD src0_sel:WORD_1 src1_sel:DWORD
	v_fmamk_f16 v138, v131, 0xb94e, v130
	v_fmac_f16_e32 v130, 0x394e, v131
	v_add_f16_e32 v122, v139, v122
	v_mul_f16_sdwa v139, v49, v137 dst_sel:DWORD dst_unused:UNUSED_PAD src0_sel:WORD_1 src1_sel:DWORD
	v_fma_f16 v134, v49, 0xb9fd, -v134
	v_fmamk_f16 v140, v49, 0x3b15, v128
	v_add_f16_e32 v109, v130, v109
	v_mul_f16_sdwa v102, v131, v102 dst_sel:DWORD dst_unused:UNUSED_PAD src0_sel:WORD_1 src1_sel:DWORD
	v_mul_f16_sdwa v130, v49, v103 dst_sel:DWORD dst_unused:UNUSED_PAD src0_sel:WORD_1 src1_sel:DWORD
	v_add_f16_e32 v116, v138, v116
	v_fmamk_f16 v138, v131, 0xb770, v139
	v_add_f16_e32 v108, v134, v108
	v_add_f16_e32 v117, v140, v117
	v_fmamk_f16 v134, v49, 0x2fb7, v102
	v_fmamk_f16 v140, v131, 0x3bf1, v130
	v_add_f16_e32 v118, v138, v118
	v_fma_f16 v128, v49, 0x3b15, -v128
	v_mov_b32_e32 v138, 0x33a8
	v_add_f16_e32 v113, v134, v113
	v_add_f16_e32 v119, v140, v119
	v_fma_f16 v102, v49, 0x2fb7, -v102
	v_pk_add_f16 v134, v50, v51 neg_lo:[0,1] neg_hi:[0,1]
	v_fmac_f16_e32 v130, 0xbbf1, v131
	v_mul_f16_sdwa v140, v49, v129 dst_sel:DWORD dst_unused:UNUSED_PAD src0_sel:WORD_1 src1_sel:DWORD
	v_fmac_f16_e32 v139, 0x3770, v131
	v_add_f16_e32 v110, v128, v110
	v_mul_f16_sdwa v128, v131, v138 dst_sel:DWORD dst_unused:UNUSED_PAD src0_sel:WORD_1 src1_sel:DWORD
	v_pk_add_f16 v50, v51, v50
	v_pk_mul_f16 v51, 0xb94e, v134 op_sel_hi:[0,1]
	v_add_f16_e32 v102, v102, v112
	v_add_f16_e32 v112, v130, v114
	v_fmamk_f16 v114, v131, 0xb3a8, v140
	v_add_f16_e32 v111, v139, v111
	v_fmamk_f16 v139, v49, 0xbbc4, v128
	v_pk_fma_f16 v130, 0xb9fd, v50, v51 op_sel:[0,0,1] op_sel_hi:[0,1,0]
	v_pk_fma_f16 v51, 0xb9fd, v50, v51 op_sel:[0,0,1] op_sel_hi:[0,1,0] neg_lo:[0,0,1] neg_hi:[0,0,1]
	v_fma_f16 v128, v49, 0xbbc4, -v128
	v_add_f16_e32 v114, v114, v125
	v_mul_f16_sdwa v125, v134, v135 dst_sel:DWORD dst_unused:UNUSED_PAD src0_sel:WORD_1 src1_sel:DWORD
	v_mul_f16_sdwa v103, v50, v103 dst_sel:DWORD dst_unused:UNUSED_PAD src0_sel:WORD_1 src1_sel:DWORD
	v_bfi_b32 v135, 0xffff, v130, v51
	v_add_f16_e32 v120, v128, v120
	v_mul_f16_sdwa v100, v134, v100 dst_sel:DWORD dst_unused:UNUSED_PAD src0_sel:WORD_1 src1_sel:DWORD
	v_fmamk_f16 v128, v50, 0x2fb7, v125
	v_fma_f16 v125, v50, 0x2fb7, -v125
	v_pk_add_f16 v121, v135, v121
	v_fmamk_f16 v135, v134, 0xbbf1, v103
	v_fmac_f16_e32 v103, 0x3bf1, v134
	v_add_f16_e32 v115, v128, v115
	v_fmamk_f16 v128, v50, 0x388b, v100
	v_add_f16_e32 v108, v125, v108
	v_mul_f16_sdwa v125, v50, v101 dst_sel:DWORD dst_unused:UNUSED_PAD src0_sel:WORD_1 src1_sel:DWORD
	v_add_f16_e32 v103, v103, v109
	v_add_f16_e32 v116, v135, v116
	;; [unrolled: 1-line block ×3, first 2 shown]
	v_mul_f16_sdwa v117, v134, v138 dst_sel:DWORD dst_unused:UNUSED_PAD src0_sel:WORD_1 src1_sel:DWORD
	v_mul_f16_sdwa v128, v50, v129 dst_sel:DWORD dst_unused:UNUSED_PAD src0_sel:WORD_1 src1_sel:DWORD
	v_fmamk_f16 v129, v134, 0x3a95, v125
	v_fma_f16 v100, v50, 0x388b, -v100
	v_fmac_f16_e32 v125, 0xba95, v134
	v_fmamk_f16 v135, v50, 0xbbc4, v117
	v_fmamk_f16 v138, v134, 0xb3a8, v128
	v_add_f16_e32 v118, v129, v118
	v_add_f16_e32 v100, v100, v110
	v_add_f16_e32 v110, v125, v111
	v_add_f16_e32 v111, v135, v113
	v_add_f16_e32 v113, v138, v119
	v_mul_f16_sdwa v119, v134, v133 dst_sel:DWORD dst_unused:UNUSED_PAD src0_sel:WORD_1 src1_sel:DWORD
	v_pk_add_f16 v129, v47, v48 neg_lo:[0,1] neg_hi:[0,1]
	v_fmac_f16_e32 v128, 0x33a8, v134
	v_pk_add_f16 v47, v48, v47
	v_fmac_f16_e32 v140, 0x33a8, v131
	v_mul_f16_sdwa v125, v50, v137 dst_sel:DWORD dst_unused:UNUSED_PAD src0_sel:WORD_1 src1_sel:DWORD
	v_fmamk_f16 v135, v50, 0x3b15, v119
	v_add_f16_e32 v112, v128, v112
	v_mul_f16_sdwa v128, v129, v133 dst_sel:DWORD dst_unused:UNUSED_PAD src0_sel:WORD_1 src1_sel:DWORD
	v_fma_f16 v119, v50, 0x3b15, -v119
	v_mul_f16_sdwa v133, v47, v137 dst_sel:DWORD dst_unused:UNUSED_PAD src0_sel:WORD_1 src1_sel:DWORD
	v_add_f16_e32 v124, v139, v124
	v_add_f16_e32 v122, v140, v122
	v_fma_f16 v117, v50, 0xbbc4, -v117
	v_fmamk_f16 v138, v134, 0xb770, v125
	v_pk_mul_f16 v48, 0xb3a8, v129 op_sel_hi:[0,1]
	v_fmac_f16_e32 v125, 0x3770, v134
	v_add_f16_e32 v119, v119, v120
	v_fmamk_f16 v120, v129, 0xb770, v133
	v_add_f16_e32 v102, v117, v102
	v_add_f16_e32 v117, v135, v124
	v_pk_fma_f16 v124, 0xbbc4, v47, v48 op_sel:[0,0,1] op_sel_hi:[0,1,0]
	v_pk_fma_f16 v48, 0xbbc4, v47, v48 op_sel:[0,0,1] op_sel_hi:[0,1,0] neg_lo:[0,0,1] neg_hi:[0,0,1]
	v_add_f16_e32 v122, v125, v122
	v_mul_f16_sdwa v106, v129, v106 dst_sel:DWORD dst_unused:UNUSED_PAD src0_sel:WORD_1 src1_sel:DWORD
	v_add_f16_e32 v116, v120, v116
	v_fma_f16 v120, v47, 0x3b15, -v128
	v_mov_b32_e32 v125, 0x3a95
	v_mul_f16_sdwa v107, v47, v107 dst_sel:DWORD dst_unused:UNUSED_PAD src0_sel:WORD_1 src1_sel:DWORD
	v_bfi_b32 v135, 0xffff, v124, v48
	v_fmamk_f16 v137, v47, 0x3b15, v128
	v_fmamk_f16 v128, v47, 0xb9fd, v106
	v_add_f16_e32 v108, v120, v108
	v_mul_f16_sdwa v120, v129, v125 dst_sel:DWORD dst_unused:UNUSED_PAD src0_sel:WORD_1 src1_sel:DWORD
	v_fmamk_f16 v125, v129, 0x394e, v107
	v_fma_f16 v106, v47, 0xb9fd, -v106
	v_fmac_f16_e32 v107, 0xb94e, v129
	v_mul_f16_sdwa v101, v47, v101 dst_sel:DWORD dst_unused:UNUSED_PAD src0_sel:WORD_1 src1_sel:DWORD
	v_pk_add_f16 v121, v135, v121
	v_add_f16_e32 v109, v128, v109
	v_fmamk_f16 v128, v47, 0x388b, v120
	v_add_f16_e32 v100, v106, v100
	v_add_f16_e32 v106, v107, v110
	v_fmamk_f16 v110, v129, 0xba95, v101
	v_fmac_f16_e32 v101, 0x3a95, v129
	v_mul_f16_sdwa v105, v47, v105 dst_sel:DWORD dst_unused:UNUSED_PAD src0_sel:WORD_1 src1_sel:DWORD
	v_pk_mul_f16 v98, 0xbbc4, v98 op_sel_hi:[0,1]
	s_barrier
	buffer_gl0_inv
	v_add_f16_e32 v114, v138, v114
	v_add_f16_e32 v107, v128, v111
	v_fma_f16 v111, v47, 0x388b, -v120
	v_mul_f16_sdwa v104, v129, v104 dst_sel:DWORD dst_unused:UNUSED_PAD src0_sel:WORD_1 src1_sel:DWORD
	v_add_f16_e32 v110, v110, v113
	v_add_f16_e32 v101, v101, v112
	v_fmamk_f16 v112, v129, 0x3b7b, v105
	v_pk_fma_f16 v113, 0xb3a8, v46, v98 op_sel:[0,0,1] op_sel_hi:[0,1,0]
	ds_write2_b32 v75, v99, v121 offset1:1
	v_pk_mul_f16 v99, 0x3b15, v126 op_sel_hi:[0,1]
	v_add_f16_e32 v115, v137, v115
	v_add_f16_e32 v118, v125, v118
	;; [unrolled: 1-line block ×3, first 2 shown]
	v_fmamk_f16 v111, v47, 0xb5ac, v104
	v_add_f16_e32 v112, v112, v114
	v_alignbit_b32 v114, s0, v113, 16
	v_pk_fma_f16 v46, 0xb3a8, v46, v98 op_sel:[0,0,1] op_sel_hi:[0,1,0] neg_lo:[0,1,0] neg_hi:[0,1,0]
	v_pk_fma_f16 v98, 0x3770, v123, v99 op_sel:[0,0,1] op_sel_hi:[0,1,0]
	v_pk_mul_f16 v54, 0xb9fd, v54 op_sel_hi:[0,1]
	v_pack_b32_f16 v115, v115, v116
	v_alignbit_b32 v116, s0, v45, 16
	v_add_f16_e32 v111, v111, v117
	v_pack_b32_f16 v109, v109, v118
	v_pk_add_f16 v114, v45, v114
	v_pk_add_f16 v46, v45, v46 op_sel:[1,0] op_sel_hi:[0,1]
	v_alignbit_b32 v117, s0, v98, 16
	v_pk_fma_f16 v99, 0x3770, v123, v99 op_sel:[0,0,1] op_sel_hi:[0,1,0] neg_lo:[0,1,0] neg_hi:[0,1,0]
	v_pk_fma_f16 v118, 0xb94e, v127, v54 op_sel:[0,0,1] op_sel_hi:[0,1,0]
	v_pk_mul_f16 v49, 0x388b, v49 op_sel_hi:[0,1]
	v_pk_add_f16 v113, v116, v113
	v_pk_add_f16 v114, v117, v114
	;; [unrolled: 1-line block ×3, first 2 shown]
	v_alignbit_b32 v99, s0, v118, 16
	v_pk_fma_f16 v54, 0xb94e, v127, v54 op_sel:[0,0,1] op_sel_hi:[0,1,0] neg_lo:[0,1,0] neg_hi:[0,1,0]
	v_pk_fma_f16 v116, 0x3a95, v131, v49 op_sel:[0,0,1] op_sel_hi:[0,1,0]
	v_pk_mul_f16 v50, 0xb5ac, v50 op_sel_hi:[0,1]
	v_pk_add_f16 v98, v98, v113
	v_bfi_b32 v96, 0xffff, v97, v96
	v_pk_add_f16 v99, v99, v114
	v_pk_add_f16 v46, v54, v46
	v_alignbit_b32 v54, s0, v116, 16
	v_pk_fma_f16 v49, 0x3a95, v131, v49 op_sel:[0,0,1] op_sel_hi:[0,1,0] neg_lo:[0,1,0] neg_hi:[0,1,0]
	v_pk_fma_f16 v113, 0xbb7b, v134, v50 op_sel:[0,0,1] op_sel_hi:[0,1,0]
	v_pk_add_f16 v98, v118, v98
	v_pk_add_f16 v45, v45, v96
	v_bfi_b32 v53, 0xffff, v56, v53
	v_fma_f16 v104, v47, 0xb5ac, -v104
	v_pk_add_f16 v54, v54, v99
	v_pk_add_f16 v46, v49, v46
	v_alignbit_b32 v49, s0, v113, 16
	v_pk_mul_f16 v47, 0x2fb7, v47 op_sel_hi:[0,1]
	v_pk_add_f16 v56, v116, v98
	v_pk_fma_f16 v50, 0xbb7b, v134, v50 op_sel:[0,0,1] op_sel_hi:[0,1,0] neg_lo:[0,1,0] neg_hi:[0,1,0]
	v_pk_add_f16 v45, v53, v45
	v_bfi_b32 v53, 0xffff, v55, v132
	v_pk_add_f16 v49, v49, v54
	v_pk_fma_f16 v54, 0x3bf1, v129, v47 op_sel:[0,0,1] op_sel_hi:[0,1,0]
	v_pk_add_f16 v46, v50, v46
	v_pk_add_f16 v50, v113, v56
	v_pk_fma_f16 v47, 0x3bf1, v129, v47 op_sel:[0,0,1] op_sel_hi:[0,1,0] neg_lo:[0,1,0] neg_hi:[0,1,0]
	v_pk_add_f16 v45, v53, v45
	v_bfi_b32 v52, 0xffff, v52, v136
	v_alignbit_b32 v55, s0, v54, 16
	v_fmac_f16_e32 v105, 0xbb7b, v129
	v_fmac_f16_e32 v133, 0x3770, v129
	v_pk_add_f16 v46, v47, v46
	v_pk_add_f16 v47, v54, v50
	;; [unrolled: 1-line block ×3, first 2 shown]
	v_bfi_b32 v50, 0xffff, v51, v130
	v_pk_add_f16 v49, v55, v49
	v_add_f16_e32 v104, v104, v119
	v_add_f16_e32 v105, v105, v122
	;; [unrolled: 1-line block ×3, first 2 shown]
	v_pk_add_f16 v45, v50, v45
	v_bfi_b32 v48, 0xffff, v48, v124
	v_add_nc_u32_e32 v86, 0x68, v86
	v_pack_b32_f16 v51, v111, v112
	v_pack_b32_f16 v52, v107, v110
	v_alignbit_b32 v47, v47, v46, 16
	v_pack_b32_f16 v46, v49, v46
	v_pack_b32_f16 v49, v102, v101
	;; [unrolled: 1-line block ×5, first 2 shown]
	v_pk_add_f16 v45, v48, v45
	ds_write2_b32 v75, v115, v109 offset0:2 offset1:3
	ds_write2_b32 v75, v52, v51 offset0:4 offset1:5
	;; [unrolled: 1-line block ×5, first 2 shown]
	ds_write_b32 v75, v45 offset:48
	s_and_saveexec_b32 s0, vcc_lo
	s_cbranch_execz .LBB0_13
; %bb.12:
	v_add_f16_e32 v99, v78, v89
	v_sub_f16_e32 v49, v39, v18
	v_add_f16_e32 v100, v76, v95
	v_sub_f16_e32 v46, v40, v17
	v_add_f16_e32 v101, v77, v94
	v_mul_f16_e32 v102, 0xbbc4, v99
	v_sub_f16_e32 v47, v41, v16
	v_mul_f16_e32 v104, 0x3b15, v100
	v_add_f16_e32 v103, v79, v93
	v_mul_f16_e32 v106, 0xb9fd, v101
	v_fmamk_f16 v50, v49, 0x33a8, v102
	v_sub_f16_e32 v107, v89, v78
	v_fmamk_f16 v51, v46, 0xb770, v104
	v_sub_f16_e32 v45, v42, v15
	v_mul_f16_e32 v108, 0x388b, v103
	v_add_f16_e32 v52, v88, v50
	v_add_f16_e32 v50, v18, v39
	v_fmamk_f16 v53, v47, 0x394e, v106
	v_mul_f16_e32 v109, 0xb3a8, v107
	v_sub_f16_e32 v110, v95, v76
	v_add_f16_e32 v52, v51, v52
	v_add_f16_e32 v51, v17, v40
	v_fmamk_f16 v54, v45, 0xba95, v108
	v_sub_f16_e32 v112, v94, v77
	v_mul_f16_e32 v111, 0x3770, v110
	v_add_f16_e32 v52, v53, v52
	v_fmamk_f16 v53, v50, 0xbbc4, v109
	v_sub_f16_e32 v115, v93, v79
	v_mul_f16_e32 v114, 0xb94e, v112
	v_fmamk_f16 v55, v51, 0x3b15, v111
	v_add_f16_e32 v54, v54, v52
	v_add_f16_e32 v53, v87, v53
	;; [unrolled: 1-line block ×4, first 2 shown]
	v_mul_f16_e32 v117, 0x3a95, v115
	v_sub_f16_e32 v119, v92, v80
	v_add_f16_e32 v56, v55, v53
	v_fmamk_f16 v96, v52, 0xb9fd, v114
	v_add_f16_e32 v55, v15, v42
	v_sub_f16_e32 v48, v43, v22
	v_mul_f16_e32 v113, 0xb5ac, v105
	v_add_f16_e32 v116, v90, v91
	v_add_f16_e32 v96, v96, v56
	v_fmamk_f16 v97, v55, 0x388b, v117
	v_add_f16_e32 v56, v22, v43
	v_mul_f16_e32 v120, 0xbb7b, v119
	v_mul_f16_e32 v121, 0xb9fd, v99
	v_fmamk_f16 v75, v48, 0x3b7b, v113
	v_mul_f16_e32 v118, 0x2fb7, v116
	v_sub_f16_e32 v53, v44, v21
	v_add_f16_e32 v96, v97, v96
	v_fmamk_f16 v97, v56, 0xb5ac, v120
	v_fmamk_f16 v98, v49, 0x394e, v121
	v_mul_f16_e32 v122, 0x2fb7, v100
	v_add_f16_e32 v54, v75, v54
	v_fmamk_f16 v75, v53, 0xbbf1, v118
	v_add_f16_e32 v96, v97, v96
	v_sub_f16_e32 v123, v91, v90
	v_add_f16_e32 v97, v88, v98
	v_fmamk_f16 v98, v46, 0xbbf1, v122
	v_mul_f16_e32 v124, 0x388b, v101
	v_mul_f16_e32 v126, 0xb94e, v107
	v_add_f16_e32 v54, v75, v54
	v_add_f16_e32 v75, v21, v44
	v_mul_f16_e32 v125, 0x3bf1, v123
	v_add_f16_e32 v97, v98, v97
	v_fmamk_f16 v98, v47, 0x3a95, v124
	v_mul_f16_e32 v127, 0xbbc4, v103
	v_fmamk_f16 v129, v50, 0xb9fd, v126
	v_mul_f16_e32 v130, 0x3bf1, v110
	v_fmamk_f16 v128, v75, 0x2fb7, v125
	v_add_f16_e32 v97, v98, v97
	v_fmamk_f16 v98, v45, 0xb3a8, v127
	v_mul_f16_e32 v131, 0x3b15, v105
	v_add_f16_e32 v129, v87, v129
	v_fmamk_f16 v132, v51, 0x2fb7, v130
	v_mul_f16_e32 v133, 0xba95, v112
	v_add_f16_e32 v97, v98, v97
	v_fmamk_f16 v98, v48, 0xb770, v131
	v_add_f16_e32 v96, v128, v96
	v_add_f16_e32 v128, v132, v129
	v_fmamk_f16 v129, v52, 0x388b, v133
	v_mul_f16_e32 v132, 0x33a8, v115
	v_add_f16_e32 v97, v98, v97
	v_mul_f16_e32 v140, 0xbb7b, v107
	v_mul_f16_e32 v144, 0x394e, v110
	v_add_f16_e32 v98, v129, v128
	v_fmamk_f16 v128, v55, 0xbbc4, v132
	v_mul_f16_e32 v129, 0x3770, v119
	v_fmamk_f16 v143, v50, 0xb5ac, v140
	v_mul_f16_e32 v134, 0xb5ac, v116
	v_mul_f16_e32 v135, 0xb5ac, v99
	v_add_f16_e32 v98, v128, v98
	v_fmamk_f16 v128, v56, 0x3b15, v129
	v_add_f16_e32 v143, v87, v143
	v_fmamk_f16 v146, v51, 0xb9fd, v144
	v_mul_f16_e32 v147, 0x3770, v112
	v_fmamk_f16 v136, v53, 0x3b7b, v134
	v_add_f16_e32 v98, v128, v98
	v_mul_f16_e32 v128, 0xbb7b, v123
	v_fmamk_f16 v137, v49, 0x3b7b, v135
	v_mul_f16_e32 v138, 0xb9fd, v100
	v_add_f16_e32 v97, v136, v97
	v_mul_f16_e32 v139, 0x3b15, v101
	v_fmamk_f16 v142, v75, 0xb5ac, v128
	v_add_f16_e32 v136, v88, v137
	v_fmamk_f16 v137, v46, 0xb94e, v138
	v_mul_f16_e32 v149, 0x33a8, v119
	v_mul_f16_e32 v141, 0x2fb7, v103
	v_add_f16_e32 v98, v142, v98
	v_add_f16_e32 v142, v146, v143
	v_fmamk_f16 v143, v52, 0x3b15, v147
	v_mul_f16_e32 v146, 0xbbf1, v115
	v_add_f16_e32 v136, v137, v136
	v_fmamk_f16 v137, v47, 0xb770, v139
	v_mul_f16_e32 v154, 0xbbf1, v107
	;; [unrolled: 3-line block ×3, first 2 shown]
	v_add_f16_e32 v136, v137, v136
	v_fmamk_f16 v137, v45, 0x3bf1, v141
	v_fmamk_f16 v157, v50, 0x2fb7, v154
	v_add_f16_e32 v142, v143, v142
	v_fmamk_f16 v143, v56, 0xbbc4, v149
	v_mul_f16_e32 v158, 0xb3a8, v110
	v_add_f16_e32 v136, v137, v136
	v_fmamk_f16 v137, v48, 0xb3a8, v145
	v_add_f16_e32 v157, v87, v157
	v_add_f16_e32 v142, v143, v142
	v_mul_f16_e32 v143, 0x3a95, v123
	v_fmamk_f16 v160, v51, 0xbbc4, v158
	v_mul_f16_e32 v161, 0x3b7b, v112
	v_add_f16_e32 v136, v137, v136
	v_mul_f16_e32 v137, 0x388b, v116
	v_fmamk_f16 v156, v75, 0x388b, v143
	v_mul_f16_e32 v148, 0x2fb7, v99
	v_mul_f16_e32 v152, 0xbbc4, v100
	;; [unrolled: 1-line block ×3, first 2 shown]
	v_fmamk_f16 v150, v53, 0xba95, v137
	v_add_f16_e32 v142, v156, v142
	v_add_f16_e32 v156, v160, v157
	v_fmamk_f16 v157, v52, 0xb5ac, v161
	v_mul_f16_e32 v160, 0x3770, v115
	v_fmamk_f16 v151, v49, 0x3bf1, v148
	v_add_f16_e32 v136, v150, v136
	v_mul_f16_e32 v153, 0xb5ac, v101
	v_add_f16_e32 v156, v157, v156
	v_fmamk_f16 v157, v55, 0x3b15, v160
	v_add_f16_e32 v150, v88, v151
	v_fmamk_f16 v151, v46, 0x33a8, v152
	v_mul_f16_e32 v155, 0x3b15, v103
	v_mul_f16_e32 v159, 0x388b, v105
	v_add_f16_e32 v156, v157, v156
	v_fmamk_f16 v157, v56, 0x388b, v163
	v_add_f16_e32 v150, v151, v150
	v_fmamk_f16 v151, v47, 0xbb7b, v153
	v_mul_f16_e32 v171, 0xbb7b, v110
	v_mul_f16_e32 v174, 0xb3a8, v112
	v_add_f16_e32 v156, v157, v156
	v_mul_f16_e32 v157, 0xba95, v107
	v_add_f16_e32 v150, v151, v150
	v_fmamk_f16 v151, v45, 0xb770, v155
	v_fmamk_f16 v173, v51, 0xb5ac, v171
	v_add_f16_e32 v39, v39, v87
	v_fmamk_f16 v170, v50, 0x388b, v157
	v_mul_f16_e32 v176, 0x394e, v115
	v_add_f16_e32 v150, v151, v150
	v_fmamk_f16 v151, v48, 0x3a95, v159
	v_add_f16_e32 v89, v89, v88
	v_add_f16_e32 v170, v87, v170
	;; [unrolled: 1-line block ×3, first 2 shown]
	v_mul_f16_e32 v165, 0xb5ac, v100
	v_add_f16_e32 v150, v151, v150
	v_mul_f16_e32 v151, 0x388b, v99
	v_add_f16_e32 v170, v173, v170
	v_fmamk_f16 v173, v52, 0xbbc4, v174
	v_mul_f16_e32 v99, 0x3b15, v99
	v_mul_f16_e32 v169, 0xb94e, v123
	v_fmamk_f16 v164, v49, 0x3a95, v151
	v_mul_f16_e32 v177, 0x3bf1, v119
	v_add_f16_e32 v170, v173, v170
	v_fmamk_f16 v173, v55, 0xb9fd, v176
	v_fmamk_f16 v178, v49, 0x3770, v99
	v_mul_f16_e32 v100, 0x388b, v100
	v_add_f16_e32 v89, v95, v89
	v_add_f16_e32 v39, v41, v39
	;; [unrolled: 1-line block ×3, first 2 shown]
	v_fmamk_f16 v167, v46, 0x3b7b, v165
	v_mul_f16_e32 v168, 0xbbc4, v101
	v_fmamk_f16 v175, v75, 0xb9fd, v169
	v_add_f16_e32 v170, v173, v170
	v_fmamk_f16 v173, v56, 0x2fb7, v177
	v_add_f16_e32 v178, v88, v178
	v_fmamk_f16 v180, v46, 0x3a95, v100
	v_mul_f16_e32 v101, 0x2fb7, v101
	v_add_f16_e32 v89, v94, v89
	v_add_f16_e32 v39, v42, v39
	;; [unrolled: 1-line block ×3, first 2 shown]
	v_mul_f16_e32 v167, 0xb9fd, v103
	v_add_f16_e32 v156, v175, v156
	v_add_f16_e32 v170, v173, v170
	;; [unrolled: 1-line block ×3, first 2 shown]
	v_fmamk_f16 v175, v47, 0x3bf1, v101
	v_mul_f16_e32 v103, 0xb5ac, v103
	v_mul_f16_e32 v107, 0xb770, v107
	v_add_f16_e32 v89, v93, v89
	v_add_f16_e32 v39, v43, v39
	;; [unrolled: 1-line block ×3, first 2 shown]
	v_fmamk_f16 v95, v45, 0x3b7b, v103
	v_fmamk_f16 v94, v50, 0x3b15, v107
	v_mul_f16_e32 v42, 0xba95, v110
	v_mul_f16_e32 v93, 0xb9fd, v105
	v_add_f16_e32 v89, v92, v89
	v_add_f16_e32 v39, v44, v39
	;; [unrolled: 1-line block ×4, first 2 shown]
	v_fmamk_f16 v43, v51, 0x388b, v42
	v_mul_f16_e32 v92, 0xbbf1, v112
	v_fmamk_f16 v95, v48, 0x394e, v93
	v_add_f16_e32 v44, v91, v89
	v_add_f16_e32 v21, v21, v39
	;; [unrolled: 1-line block ×3, first 2 shown]
	v_fmamk_f16 v89, v52, 0x2fb7, v92
	v_mul_f16_e32 v91, 0xbb7b, v115
	v_add_f16_e32 v39, v95, v40
	v_add_f16_e32 v40, v90, v44
	;; [unrolled: 1-line block ×4, first 2 shown]
	v_fmamk_f16 v44, v55, 0xb5ac, v91
	v_mul_f16_e32 v22, 0xb94e, v119
	v_add_f16_e32 v40, v80, v40
	v_add_f16_e32 v15, v15, v21
	v_fmac_f16_e32 v121, 0xb94e, v49
	v_add_f16_e32 v43, v44, v43
	v_fmamk_f16 v21, v56, 0xb9fd, v22
	v_add_f16_e32 v40, v79, v40
	v_add_f16_e32 v15, v16, v15
	v_mul_f16_e32 v44, 0xb3a8, v123
	v_fmac_f16_e32 v135, 0xbb7b, v49
	v_add_f16_e32 v16, v21, v43
	v_add_f16_e32 v21, v77, v40
	;; [unrolled: 1-line block ×3, first 2 shown]
	v_fmamk_f16 v40, v75, 0xbbc4, v44
	v_add_f16_e32 v43, v88, v121
	v_fmac_f16_e32 v122, 0x3bf1, v46
	v_add_f16_e32 v21, v76, v21
	v_add_f16_e32 v15, v18, v15
	v_fma_f16 v18, v50, 0xbbc4, -v109
	v_fma_f16 v76, v50, 0xb9fd, -v126
	v_add_f16_e32 v16, v40, v16
	v_add_f16_e32 v21, v78, v21
	v_fma_f16 v40, v51, 0x3b15, -v111
	v_add_f16_e32 v18, v87, v18
	v_add_f16_e32 v76, v87, v76
	v_fma_f16 v77, v51, 0x2fb7, -v130
	v_add_f16_e32 v78, v88, v135
	v_fmac_f16_e32 v138, 0x394e, v46
	v_add_f16_e32 v18, v40, v18
	v_fma_f16 v40, v52, 0xb9fd, -v114
	v_add_f16_e32 v43, v122, v43
	v_fmac_f16_e32 v124, 0xba95, v47
	;; [unrolled: 4-line block ×7, first 2 shown]
	v_mul_f16_e32 v162, 0xb9fd, v116
	v_mul_f16_e32 v80, 0xbbc4, v116
	v_add_f16_e32 v18, v40, v18
	v_fma_f16 v40, v75, 0x2fb7, -v125
	v_add_f16_e32 v43, v131, v43
	v_fmac_f16_e32 v134, 0xbb7b, v53
	v_add_f16_e32 v76, v77, v76
	v_fma_f16 v77, v75, 0xb5ac, -v128
	v_add_f16_e32 v78, v145, v78
	v_fmac_f16_e32 v137, 0x3a95, v53
	v_fmamk_f16 v166, v53, 0x394e, v162
	v_fmamk_f16 v79, v53, 0x33a8, v80
	v_add_f16_e32 v18, v40, v18
	v_add_f16_e32 v40, v134, v43
	v_fma_f16 v43, v50, 0xb5ac, -v140
	v_add_f16_e32 v76, v77, v76
	v_add_f16_e32 v77, v137, v78
	v_fma_f16 v78, v50, 0x2fb7, -v154
	v_fmac_f16_e32 v151, 0xba95, v49
	v_add_f16_e32 v150, v166, v150
	v_fmamk_f16 v166, v47, 0x33a8, v168
	v_add_f16_e32 v17, v79, v39
	v_add_f16_e32 v43, v87, v43
	v_fma_f16 v79, v51, 0xb9fd, -v144
	v_add_f16_e32 v78, v87, v78
	v_fma_f16 v89, v51, 0xbbc4, -v158
	v_add_f16_e32 v90, v88, v151
	v_fmac_f16_e32 v165, 0xbb7b, v46
	v_add_f16_e32 v164, v166, v164
	v_fmamk_f16 v166, v45, 0xb94e, v167
	v_mul_f16_e32 v172, 0x2fb7, v105
	v_add_f16_e32 v43, v79, v43
	v_fma_f16 v79, v52, 0x3b15, -v147
	v_add_f16_e32 v78, v89, v78
	v_fma_f16 v89, v52, 0xb5ac, -v161
	v_add_f16_e32 v90, v165, v90
	v_fmac_f16_e32 v168, 0xb3a8, v47
	v_add_f16_e32 v164, v166, v164
	v_fmamk_f16 v166, v48, 0xbbf1, v172
	v_add_f16_e32 v43, v79, v43
	v_fma_f16 v79, v55, 0x2fb7, -v146
	v_add_f16_e32 v78, v89, v78
	v_fma_f16 v89, v55, 0x3b15, -v160
	v_add_f16_e32 v90, v168, v90
	v_fmac_f16_e32 v167, 0x394e, v45
	v_add_f16_e32 v164, v166, v164
	v_mul_f16_e32 v166, 0x3b15, v116
	v_add_f16_e32 v43, v79, v43
	v_fma_f16 v79, v56, 0xbbc4, -v149
	v_add_f16_e32 v78, v89, v78
	v_fma_f16 v89, v56, 0x388b, -v163
	v_add_f16_e32 v90, v167, v90
	v_fmac_f16_e32 v172, 0x3bf1, v48
	v_fmac_f16_e32 v102, 0xb3a8, v49
	v_fmamk_f16 v179, v53, 0xb770, v166
	v_add_f16_e32 v43, v79, v43
	v_fma_f16 v79, v75, 0x388b, -v143
	v_fmac_f16_e32 v148, 0xbbf1, v49
	v_add_f16_e32 v78, v89, v78
	v_fma_f16 v89, v75, 0xb9fd, -v169
	v_add_f16_e32 v90, v172, v90
	v_fmac_f16_e32 v166, 0x3770, v53
	v_fma_f16 v94, v50, 0x388b, -v157
	v_fmac_f16_e32 v99, 0xb770, v49
	v_fma_f16 v50, v50, 0x3b15, -v107
	v_add_f16_e32 v39, v88, v102
	v_fmac_f16_e32 v104, 0x3770, v46
	v_add_f16_e32 v43, v79, v43
	v_add_f16_e32 v79, v88, v148
	v_fmac_f16_e32 v152, 0xb3a8, v46
	v_add_f16_e32 v78, v89, v78
	v_add_f16_e32 v49, v166, v90
	;; [unrolled: 1-line block ×3, first 2 shown]
	v_fma_f16 v90, v51, 0xb5ac, -v171
	v_add_f16_e32 v88, v88, v99
	v_fmac_f16_e32 v100, 0xba95, v46
	v_add_f16_e32 v46, v87, v50
	v_fma_f16 v42, v51, 0x388b, -v42
	v_add_f16_e32 v39, v104, v39
	v_fmac_f16_e32 v106, 0xb94e, v47
	v_add_f16_e32 v79, v152, v79
	v_fmac_f16_e32 v153, 0x3b7b, v47
	v_add_f16_e32 v50, v90, v89
	v_fma_f16 v51, v52, 0xbbc4, -v174
	v_add_f16_e32 v87, v100, v88
	v_fmac_f16_e32 v101, 0xbbf1, v47
	v_add_f16_e32 v42, v42, v46
	v_fma_f16 v46, v52, 0x2fb7, -v92
	v_mul_f16_e32 v178, 0x3770, v123
	v_add_f16_e32 v39, v106, v39
	v_fmac_f16_e32 v108, 0x3a95, v45
	v_add_f16_e32 v79, v153, v79
	v_fmac_f16_e32 v155, 0x3770, v45
	v_add_f16_e32 v47, v51, v50
	v_fma_f16 v50, v55, 0xb9fd, -v176
	v_add_f16_e32 v51, v101, v87
	v_fmac_f16_e32 v103, 0xbb7b, v45
	v_add_f16_e32 v42, v46, v42
	v_fma_f16 v45, v55, 0xb5ac, -v91
	v_fmamk_f16 v41, v75, 0x3b15, v178
	v_add_f16_e32 v39, v108, v39
	v_fmac_f16_e32 v113, 0xbb7b, v48
	v_add_f16_e32 v79, v155, v79
	v_fmac_f16_e32 v159, 0xba95, v48
	v_add_f16_e32 v46, v50, v47
	v_fma_f16 v47, v56, 0x2fb7, -v177
	v_add_f16_e32 v50, v103, v51
	v_fmac_f16_e32 v93, 0xb94e, v48
	v_add_f16_e32 v42, v45, v42
	v_fma_f16 v22, v56, 0xb9fd, -v22
	v_add_f16_e32 v164, v179, v164
	v_add_f16_e32 v41, v41, v170
	;; [unrolled: 1-line block ×3, first 2 shown]
	v_fmac_f16_e32 v118, 0x3bf1, v53
	v_add_f16_e32 v79, v159, v79
	v_fmac_f16_e32 v162, 0xb94e, v53
	v_add_f16_e32 v45, v47, v46
	v_fma_f16 v46, v75, 0x3b15, -v178
	v_add_f16_e32 v47, v93, v50
	v_fmac_f16_e32 v80, 0xb3a8, v53
	v_add_f16_e32 v22, v22, v42
	v_fma_f16 v42, v75, 0xbbc4, -v44
	v_lshl_add_u32 v44, v74, 2, v73
	v_pack_b32_f16 v16, v16, v17
	v_pack_b32_f16 v15, v15, v21
	v_add_f16_e32 v39, v118, v39
	v_pack_b32_f16 v17, v156, v150
	v_pack_b32_f16 v21, v41, v164
	v_add_f16_e32 v79, v162, v79
	v_add_f16_e32 v41, v46, v45
	;; [unrolled: 1-line block ×4, first 2 shown]
	ds_write2_b32 v44, v15, v16 offset1:1
	ds_write2_b32 v44, v21, v17 offset0:2 offset1:3
	v_pack_b32_f16 v15, v98, v97
	v_pack_b32_f16 v16, v142, v136
	;; [unrolled: 1-line block ×9, first 2 shown]
	ds_write2_b32 v44, v16, v15 offset0:4 offset1:5
	ds_write2_b32 v44, v18, v17 offset0:6 offset1:7
	;; [unrolled: 1-line block ×4, first 2 shown]
	ds_write_b32 v44, v22 offset:48
.LBB0_13:
	s_or_b32 exec_lo, exec_lo, s0
	s_waitcnt lgkmcnt(0)
	s_barrier
	buffer_gl0_inv
	ds_read2_b32 v[15:16], v57 offset1:13
	ds_read2_b32 v[17:18], v57 offset0:78 offset1:91
	ds_read2_b32 v[21:22], v57 offset0:182 offset1:195
	ds_read2_b32 v[39:40], v57 offset0:104 offset1:117
	ds_read2_b32 v[41:42], v57 offset0:26 offset1:39
	ds_read2_b32 v[43:44], v57 offset0:208 offset1:221
	ds_read2_b32 v[45:46], v57 offset0:130 offset1:143
	ds_read2_b32 v[47:48], v57 offset0:52 offset1:65
	ds_read2_b32 v[49:50], v57 offset0:234 offset1:247
	ds_read2_b32 v[51:52], v57 offset0:156 offset1:169
	ds_read_b32 v53, v57 offset:1040
	s_waitcnt lgkmcnt(0)
	s_barrier
	buffer_gl0_inv
	s_mov_b32 s4, 0x1e01e01e
	s_mov_b32 s5, 0x3f6e01e0
	v_lshrrev_b32_e32 v54, 16, v15
	v_lshrrev_b32_e32 v55, 16, v18
	;; [unrolled: 1-line block ×5, first 2 shown]
	v_mul_f16_sdwa v97, v19, v18 dst_sel:DWORD dst_unused:UNUSED_PAD src0_sel:WORD_1 src1_sel:DWORD
	v_mul_f16_sdwa v95, v19, v55 dst_sel:DWORD dst_unused:UNUSED_PAD src0_sel:WORD_1 src1_sel:DWORD
	;; [unrolled: 1-line block ×3, first 2 shown]
	v_lshrrev_b32_e32 v77, 16, v40
	v_lshrrev_b32_e32 v78, 16, v43
	v_fma_f16 v55, v19, v55, -v97
	v_fmac_f16_e32 v95, v19, v18
	v_mul_f16_sdwa v18, v20, v21 dst_sel:DWORD dst_unused:UNUSED_PAD src0_sel:WORD_1 src1_sel:DWORD
	v_mul_f16_sdwa v97, v19, v74 dst_sel:DWORD dst_unused:UNUSED_PAD src0_sel:WORD_1 src1_sel:DWORD
	v_fmac_f16_e32 v99, v20, v21
	v_mul_f16_sdwa v21, v19, v39 dst_sel:DWORD dst_unused:UNUSED_PAD src0_sel:WORD_1 src1_sel:DWORD
	v_lshrrev_b32_e32 v80, 16, v45
	v_fma_f16 v18, v20, v56, -v18
	v_mul_f16_sdwa v56, v20, v75 dst_sel:DWORD dst_unused:UNUSED_PAD src0_sel:WORD_1 src1_sel:DWORD
	v_fmac_f16_e32 v97, v19, v39
	v_mul_f16_sdwa v39, v20, v22 dst_sel:DWORD dst_unused:UNUSED_PAD src0_sel:WORD_1 src1_sel:DWORD
	v_fma_f16 v19, v19, v74, -v21
	v_mul_f16_sdwa v21, v31, v77 dst_sel:DWORD dst_unused:UNUSED_PAD src0_sel:WORD_1 src1_sel:DWORD
	v_fmac_f16_e32 v56, v20, v22
	v_mul_f16_sdwa v22, v31, v40 dst_sel:DWORD dst_unused:UNUSED_PAD src0_sel:WORD_1 src1_sel:DWORD
	v_lshrrev_b32_e32 v87, 16, v44
	v_fma_f16 v20, v20, v75, -v39
	v_mul_f16_sdwa v39, v32, v78 dst_sel:DWORD dst_unused:UNUSED_PAD src0_sel:WORD_1 src1_sel:DWORD
	v_fmac_f16_e32 v21, v31, v40
	v_mul_f16_sdwa v40, v32, v43 dst_sel:DWORD dst_unused:UNUSED_PAD src0_sel:WORD_1 src1_sel:DWORD
	v_fma_f16 v22, v31, v77, -v22
	v_mul_f16_sdwa v31, v29, v80 dst_sel:DWORD dst_unused:UNUSED_PAD src0_sel:WORD_1 src1_sel:DWORD
	v_lshrrev_b32_e32 v89, 16, v46
	v_lshrrev_b32_e32 v90, 16, v49
	v_fmac_f16_e32 v39, v32, v43
	v_mul_f16_sdwa v43, v29, v45 dst_sel:DWORD dst_unused:UNUSED_PAD src0_sel:WORD_1 src1_sel:DWORD
	v_fma_f16 v32, v32, v78, -v40
	v_mul_f16_sdwa v40, v30, v87 dst_sel:DWORD dst_unused:UNUSED_PAD src0_sel:WORD_1 src1_sel:DWORD
	v_fmac_f16_e32 v31, v29, v45
	v_mul_f16_sdwa v45, v30, v44 dst_sel:DWORD dst_unused:UNUSED_PAD src0_sel:WORD_1 src1_sel:DWORD
	v_lshrrev_b32_e32 v92, 16, v51
	v_fma_f16 v29, v29, v80, -v43
	v_mul_f16_sdwa v43, v27, v89 dst_sel:DWORD dst_unused:UNUSED_PAD src0_sel:WORD_1 src1_sel:DWORD
	v_fmac_f16_e32 v40, v30, v44
	v_mul_f16_sdwa v44, v27, v46 dst_sel:DWORD dst_unused:UNUSED_PAD src0_sel:WORD_1 src1_sel:DWORD
	v_fma_f16 v30, v30, v87, -v45
	v_mul_f16_sdwa v45, v28, v90 dst_sel:DWORD dst_unused:UNUSED_PAD src0_sel:WORD_1 src1_sel:DWORD
	v_lshrrev_b32_e32 v93, 16, v50
	v_lshrrev_b32_e32 v96, 16, v52
	v_fmac_f16_e32 v43, v27, v46
	v_mul_f16_sdwa v46, v28, v49 dst_sel:DWORD dst_unused:UNUSED_PAD src0_sel:WORD_1 src1_sel:DWORD
	v_fma_f16 v27, v27, v89, -v44
	v_mul_f16_sdwa v44, v25, v92 dst_sel:DWORD dst_unused:UNUSED_PAD src0_sel:WORD_1 src1_sel:DWORD
	v_fmac_f16_e32 v45, v28, v49
	v_mul_f16_sdwa v49, v25, v51 dst_sel:DWORD dst_unused:UNUSED_PAD src0_sel:WORD_1 src1_sel:DWORD
	v_lshrrev_b32_e32 v98, 16, v53
	v_fma_f16 v28, v28, v90, -v46
	v_mul_f16_sdwa v46, v26, v93 dst_sel:DWORD dst_unused:UNUSED_PAD src0_sel:WORD_1 src1_sel:DWORD
	v_fmac_f16_e32 v44, v25, v51
	v_mul_f16_sdwa v51, v26, v50 dst_sel:DWORD dst_unused:UNUSED_PAD src0_sel:WORD_1 src1_sel:DWORD
	v_fma_f16 v25, v25, v92, -v49
	v_mul_f16_sdwa v49, v23, v96 dst_sel:DWORD dst_unused:UNUSED_PAD src0_sel:WORD_1 src1_sel:DWORD
	v_fmac_f16_e32 v46, v26, v50
	v_mul_f16_sdwa v50, v23, v52 dst_sel:DWORD dst_unused:UNUSED_PAD src0_sel:WORD_1 src1_sel:DWORD
	;; [unrolled: 4-line block ×3, first 2 shown]
	v_fma_f16 v23, v23, v96, -v50
	v_add_f16_e32 v50, v95, v99
	v_fmac_f16_e32 v51, v24, v53
	v_add_f16_e32 v53, v15, v95
	v_fma_f16 v24, v24, v98, -v52
	v_add_f16_e32 v52, v55, v18
	v_fma_f16 v15, -0.5, v50, v15
	v_sub_f16_e32 v50, v55, v18
	v_add_f16_e32 v55, v54, v55
	v_lshrrev_b32_e32 v73, 16, v16
	v_fmac_f16_e32 v54, -0.5, v52
	v_sub_f16_e32 v52, v95, v99
	v_fmamk_f16 v74, v50, 0xbaee, v15
	v_fmac_f16_e32 v15, 0x3aee, v50
	v_add_f16_e32 v18, v55, v18
	v_add_f16_e32 v50, v97, v56
	v_fmamk_f16 v55, v52, 0x3aee, v54
	v_fmac_f16_e32 v54, 0xbaee, v52
	v_add_f16_e32 v52, v19, v20
	v_add_f16_e32 v75, v16, v97
	v_fmac_f16_e32 v16, -0.5, v50
	v_sub_f16_e32 v50, v19, v20
	v_add_f16_e32 v19, v73, v19
	v_fmac_f16_e32 v73, -0.5, v52
	v_sub_f16_e32 v52, v97, v56
	v_lshrrev_b32_e32 v76, 16, v41
	v_add_f16_e32 v75, v75, v56
	v_fmamk_f16 v56, v50, 0xbaee, v16
	v_fmac_f16_e32 v16, 0x3aee, v50
	v_add_f16_e32 v19, v19, v20
	v_add_f16_e32 v20, v21, v39
	v_fmamk_f16 v50, v52, 0x3aee, v73
	v_fmac_f16_e32 v73, 0xbaee, v52
	v_add_f16_e32 v52, v22, v32
	v_add_f16_e32 v77, v41, v21
	v_fma_f16 v20, -0.5, v20, v41
	v_sub_f16_e32 v41, v22, v32
	v_add_f16_e32 v22, v76, v22
	v_fmac_f16_e32 v76, -0.5, v52
	v_sub_f16_e32 v21, v21, v39
	v_lshrrev_b32_e32 v79, 16, v42
	v_add_f16_e32 v77, v77, v39
	v_fmamk_f16 v39, v41, 0xbaee, v20
	v_fmac_f16_e32 v20, 0x3aee, v41
	v_add_f16_e32 v22, v22, v32
	v_add_f16_e32 v32, v31, v40
	v_fmamk_f16 v41, v21, 0x3aee, v76
	v_fmac_f16_e32 v76, 0xbaee, v21
	v_add_f16_e32 v21, v29, v30
	v_add_f16_e32 v52, v42, v31
	v_fmac_f16_e32 v42, -0.5, v32
	v_sub_f16_e32 v32, v29, v30
	v_add_f16_e32 v29, v79, v29
	v_fmac_f16_e32 v79, -0.5, v21
	v_sub_f16_e32 v21, v31, v40
	v_lshrrev_b32_e32 v88, 16, v47
	v_fmamk_f16 v31, v32, 0xbaee, v42
	v_fmac_f16_e32 v42, 0x3aee, v32
	v_add_f16_e32 v29, v29, v30
	v_add_f16_e32 v30, v43, v45
	v_fmamk_f16 v32, v21, 0x3aee, v79
	v_fmac_f16_e32 v79, 0xbaee, v21
	v_add_f16_e32 v21, v27, v28
	v_add_f16_e32 v52, v52, v40
	;; [unrolled: 1-line block ×3, first 2 shown]
	v_fma_f16 v30, -0.5, v30, v47
	v_sub_f16_e32 v47, v27, v28
	v_add_f16_e32 v27, v88, v27
	v_fmac_f16_e32 v88, -0.5, v21
	v_sub_f16_e32 v21, v43, v45
	v_lshrrev_b32_e32 v91, 16, v48
	v_add_f16_e32 v40, v40, v45
	v_add_f16_e32 v27, v27, v28
	v_add_f16_e32 v28, v44, v46
	v_fmamk_f16 v45, v21, 0x3aee, v88
	v_fmac_f16_e32 v88, 0xbaee, v21
	v_add_f16_e32 v21, v25, v26
	v_fmamk_f16 v43, v47, 0xbaee, v30
	v_fmac_f16_e32 v30, 0x3aee, v47
	v_add_f16_e32 v47, v48, v44
	v_fmac_f16_e32 v48, -0.5, v28
	v_sub_f16_e32 v28, v25, v26
	v_add_f16_e32 v25, v91, v25
	v_fmac_f16_e32 v91, -0.5, v21
	v_sub_f16_e32 v21, v44, v46
	v_lshrrev_b32_e32 v94, 16, v17
	v_fmamk_f16 v44, v28, 0xbaee, v48
	v_fmac_f16_e32 v48, 0x3aee, v28
	v_add_f16_e32 v25, v25, v26
	v_add_f16_e32 v26, v49, v51
	v_fmamk_f16 v28, v21, 0x3aee, v91
	v_fmac_f16_e32 v91, 0xbaee, v21
	v_add_f16_e32 v21, v23, v24
	v_add_f16_e32 v53, v53, v99
	;; [unrolled: 1-line block ×4, first 2 shown]
	v_fmac_f16_e32 v17, -0.5, v26
	v_sub_f16_e32 v26, v23, v24
	v_add_f16_e32 v23, v94, v23
	v_fmac_f16_e32 v94, -0.5, v21
	v_sub_f16_e32 v21, v49, v51
	v_pack_b32_f16 v18, v53, v18
	v_pack_b32_f16 v15, v15, v54
	v_add_f16_e32 v23, v23, v24
	v_pack_b32_f16 v19, v75, v19
	v_fmamk_f16 v24, v21, 0x3aee, v94
	v_fmac_f16_e32 v94, 0xbaee, v21
	v_pack_b32_f16 v21, v74, v55
	v_fmamk_f16 v49, v26, 0xbaee, v17
	v_fmac_f16_e32 v17, 0x3aee, v26
	v_pack_b32_f16 v26, v56, v50
	v_pack_b32_f16 v16, v16, v73
	ds_write2_b32 v57, v18, v21 offset1:13
	ds_write2_b32 v57, v15, v19 offset0:26 offset1:39
	ds_write2_b32 v57, v26, v16 offset0:52 offset1:65
	v_pack_b32_f16 v15, v77, v22
	v_pack_b32_f16 v16, v39, v41
	v_pack_b32_f16 v18, v20, v76
	v_pack_b32_f16 v19, v52, v29
	v_pack_b32_f16 v20, v31, v32
	v_add_f16_e32 v46, v46, v51
	v_pack_b32_f16 v21, v42, v79
	v_pack_b32_f16 v22, v40, v27
	;; [unrolled: 1-line block ×3, first 2 shown]
	ds_write2_b32 v85, v15, v16 offset0:78 offset1:91
	ds_write_b32 v85, v18 offset:416
	ds_write2_b32 v84, v19, v20 offset0:117 offset1:130
	ds_write_b32 v84, v21 offset:572
	ds_write2_b32 v83, v22, v26 offset0:156 offset1:169
	v_pack_b32_f16 v15, v30, v88
	v_pack_b32_f16 v16, v47, v25
	;; [unrolled: 1-line block ×7, first 2 shown]
	ds_write_b32 v83, v15 offset:728
	ds_write2_b32 v82, v16, v18 offset0:195 offset1:208
	ds_write_b32 v82, v19 offset:884
	ds_write2_b32 v81, v20, v21 offset0:234 offset1:247
	ds_write_b32 v81, v17 offset:1040
	s_waitcnt lgkmcnt(0)
	s_barrier
	buffer_gl0_inv
	ds_read2_b32 v[15:16], v57 offset0:26 offset1:39
	ds_read2_b32 v[17:18], v57 offset0:78 offset1:91
	;; [unrolled: 1-line block ×9, first 2 shown]
	ds_read_b32 v41, v57 offset:1040
	ds_read2_b32 v[39:40], v57 offset1:13
	s_waitcnt lgkmcnt(10)
	v_lshrrev_b32_e32 v42, 16, v16
	s_waitcnt lgkmcnt(9)
	v_lshrrev_b32_e32 v43, 16, v17
	;; [unrolled: 2-line block ×5, first 2 shown]
	v_mul_f16_sdwa v56, v8, v42 dst_sel:DWORD dst_unused:UNUSED_PAD src0_sel:WORD_1 src1_sel:DWORD
	s_waitcnt lgkmcnt(5)
	v_lshrrev_b32_e32 v47, 16, v25
	v_mul_f16_sdwa v77, v9, v43 dst_sel:DWORD dst_unused:UNUSED_PAD src0_sel:WORD_1 src1_sel:DWORD
	v_mul_f16_sdwa v78, v9, v17 dst_sel:DWORD dst_unused:UNUSED_PAD src0_sel:WORD_1 src1_sel:DWORD
	v_mul_f16_sdwa v79, v10, v44 dst_sel:DWORD dst_unused:UNUSED_PAD src0_sel:WORD_1 src1_sel:DWORD
	v_fmac_f16_e32 v56, v8, v16
	v_mul_f16_sdwa v16, v8, v16 dst_sel:DWORD dst_unused:UNUSED_PAD src0_sel:WORD_1 src1_sel:DWORD
	s_waitcnt lgkmcnt(4)
	v_lshrrev_b32_e32 v48, 16, v27
	v_lshrrev_b32_e32 v49, 16, v18
	v_mul_f16_sdwa v80, v10, v20 dst_sel:DWORD dst_unused:UNUSED_PAD src0_sel:WORD_1 src1_sel:DWORD
	v_fmac_f16_e32 v77, v9, v17
	v_fma_f16 v8, v8, v42, -v16
	v_fma_f16 v9, v9, v43, -v78
	v_fmac_f16_e32 v79, v10, v20
	v_mul_f16_sdwa v16, v11, v45 dst_sel:DWORD dst_unused:UNUSED_PAD src0_sel:WORD_1 src1_sel:DWORD
	v_mul_f16_sdwa v17, v11, v21 dst_sel:DWORD dst_unused:UNUSED_PAD src0_sel:WORD_1 src1_sel:DWORD
	;; [unrolled: 1-line block ×5, first 2 shown]
	s_waitcnt lgkmcnt(3)
	v_lshrrev_b32_e32 v50, 16, v29
	v_lshrrev_b32_e32 v51, 16, v22
	s_waitcnt lgkmcnt(2)
	v_lshrrev_b32_e32 v52, 16, v31
	v_fmac_f16_e32 v16, v11, v21
	v_fma_f16 v11, v11, v45, -v17
	v_fmac_f16_e32 v20, v37, v24
	v_fma_f16 v17, v37, v46, -v42
	v_fmac_f16_e32 v43, v38, v25
	v_mul_f16_sdwa v21, v38, v25 dst_sel:DWORD dst_unused:UNUSED_PAD src0_sel:WORD_1 src1_sel:DWORD
	v_mul_f16_sdwa v24, v4, v48 dst_sel:DWORD dst_unused:UNUSED_PAD src0_sel:WORD_1 src1_sel:DWORD
	;; [unrolled: 1-line block ×5, first 2 shown]
	v_lshrrev_b32_e32 v53, 16, v26
	v_lshrrev_b32_e32 v54, 16, v28
	v_fma_f16 v21, v38, v47, -v21
	v_fmac_f16_e32 v24, v4, v27
	v_fma_f16 v4, v4, v48, -v25
	v_fmac_f16_e32 v37, v5, v18
	v_fma_f16 v5, v5, v49, -v42
	v_mul_f16_sdwa v18, v6, v50 dst_sel:DWORD dst_unused:UNUSED_PAD src0_sel:WORD_1 src1_sel:DWORD
	v_mul_f16_sdwa v25, v6, v29 dst_sel:DWORD dst_unused:UNUSED_PAD src0_sel:WORD_1 src1_sel:DWORD
	;; [unrolled: 1-line block ×5, first 2 shown]
	v_lshrrev_b32_e32 v55, 16, v19
	v_lshrrev_b32_e32 v73, 16, v30
	;; [unrolled: 1-line block ×3, first 2 shown]
	v_fmac_f16_e32 v18, v6, v29
	v_fma_f16 v6, v6, v50, -v25
	v_fmac_f16_e32 v27, v7, v22
	v_fma_f16 v7, v7, v51, -v38
	v_fmac_f16_e32 v42, v35, v31
	v_mul_f16_sdwa v22, v35, v31 dst_sel:DWORD dst_unused:UNUSED_PAD src0_sel:WORD_1 src1_sel:DWORD
	v_mul_f16_sdwa v25, v36, v53 dst_sel:DWORD dst_unused:UNUSED_PAD src0_sel:WORD_1 src1_sel:DWORD
	;; [unrolled: 1-line block ×5, first 2 shown]
	v_lshrrev_b32_e32 v75, 16, v32
	v_fma_f16 v22, v35, v52, -v22
	v_fmac_f16_e32 v25, v36, v26
	v_fma_f16 v26, v36, v53, -v29
	v_fmac_f16_e32 v31, v0, v28
	v_fma_f16 v0, v0, v54, -v38
	v_mul_f16_sdwa v28, v1, v55 dst_sel:DWORD dst_unused:UNUSED_PAD src0_sel:WORD_1 src1_sel:DWORD
	v_mul_f16_sdwa v29, v1, v19 dst_sel:DWORD dst_unused:UNUSED_PAD src0_sel:WORD_1 src1_sel:DWORD
	;; [unrolled: 1-line block ×5, first 2 shown]
	s_waitcnt lgkmcnt(1)
	v_lshrrev_b32_e32 v76, 16, v41
	v_fmac_f16_e32 v28, v1, v19
	v_fma_f16 v1, v1, v55, -v29
	v_fmac_f16_e32 v35, v2, v30
	v_fma_f16 v2, v2, v73, -v36
	v_fmac_f16_e32 v38, v3, v23
	v_mul_f16_sdwa v19, v3, v23 dst_sel:DWORD dst_unused:UNUSED_PAD src0_sel:WORD_1 src1_sel:DWORD
	v_mul_f16_sdwa v23, v33, v75 dst_sel:DWORD dst_unused:UNUSED_PAD src0_sel:WORD_1 src1_sel:DWORD
	;; [unrolled: 1-line block ×4, first 2 shown]
	v_fma_f16 v10, v10, v44, -v80
	v_mul_f16_sdwa v30, v34, v76 dst_sel:DWORD dst_unused:UNUSED_PAD src0_sel:WORD_1 src1_sel:DWORD
	v_fma_f16 v3, v3, v74, -v19
	v_fmac_f16_e32 v23, v33, v32
	v_fma_f16 v19, v33, v75, -v29
	v_fma_f16 v29, v34, v76, -v36
	v_add_f16_e32 v32, v56, v43
	v_add_f16_e32 v33, v8, v21
	v_sub_f16_e32 v8, v8, v21
	v_add_f16_e32 v21, v77, v20
	v_add_f16_e32 v36, v9, v17
	v_fmac_f16_e32 v30, v34, v41
	v_sub_f16_e32 v34, v56, v43
	v_sub_f16_e32 v20, v77, v20
	;; [unrolled: 1-line block ×3, first 2 shown]
	v_add_f16_e32 v17, v79, v16
	v_add_f16_e32 v41, v10, v11
	v_sub_f16_e32 v16, v16, v79
	v_sub_f16_e32 v10, v11, v10
	v_add_f16_e32 v11, v21, v32
	v_add_f16_e32 v43, v36, v33
	v_sub_f16_e32 v44, v21, v32
	v_sub_f16_e32 v45, v36, v33
	;; [unrolled: 1-line block ×6, first 2 shown]
	v_add_f16_e32 v46, v16, v20
	v_add_f16_e32 v47, v10, v9
	v_sub_f16_e32 v48, v16, v20
	v_sub_f16_e32 v49, v10, v9
	v_sub_f16_e32 v20, v20, v34
	v_add_f16_e32 v11, v17, v11
	v_add_f16_e32 v17, v41, v43
	v_sub_f16_e32 v9, v9, v8
	v_sub_f16_e32 v16, v34, v16
	;; [unrolled: 1-line block ×3, first 2 shown]
	v_add_f16_e32 v34, v46, v34
	v_add_f16_e32 v8, v47, v8
	s_waitcnt lgkmcnt(0)
	v_add_f16_e32 v41, v39, v11
	v_add_f16_sdwa v39, v39, v17 dst_sel:DWORD dst_unused:UNUSED_PAD src0_sel:WORD_1 src1_sel:DWORD
	v_mul_f16_e32 v32, 0x3a52, v32
	v_mul_f16_e32 v33, 0x3a52, v33
	;; [unrolled: 1-line block ×8, first 2 shown]
	v_fmamk_f16 v11, v11, 0xbcab, v41
	v_fmamk_f16 v17, v17, 0xbcab, v39
	;; [unrolled: 1-line block ×4, first 2 shown]
	v_fma_f16 v43, v44, 0x39e0, -v43
	v_fma_f16 v46, v45, 0x39e0, -v46
	;; [unrolled: 1-line block ×4, first 2 shown]
	v_fmamk_f16 v44, v16, 0xb574, v47
	v_fmamk_f16 v45, v10, 0xb574, v48
	v_fma_f16 v16, v16, 0x3574, -v49
	v_fma_f16 v10, v10, 0x3574, -v50
	;; [unrolled: 1-line block ×4, first 2 shown]
	v_add_f16_e32 v21, v21, v11
	v_add_f16_e32 v36, v36, v17
	;; [unrolled: 1-line block ×6, first 2 shown]
	v_fmac_f16_e32 v44, 0xb70e, v34
	v_fmac_f16_e32 v45, 0xb70e, v8
	;; [unrolled: 1-line block ×6, first 2 shown]
	v_add_f16_e32 v8, v45, v21
	v_sub_f16_e32 v32, v36, v44
	v_add_f16_e32 v33, v10, v11
	v_sub_f16_e32 v34, v17, v16
	v_sub_f16_e32 v10, v11, v10
	v_add_f16_e32 v11, v16, v17
	v_sub_f16_e32 v16, v21, v45
	v_add_f16_e32 v17, v44, v36
	v_add_f16_e32 v21, v24, v25
	;; [unrolled: 1-line block ×3, first 2 shown]
	v_sub_f16_e32 v24, v24, v25
	v_sub_f16_e32 v4, v4, v26
	v_add_f16_e32 v25, v37, v42
	v_add_f16_e32 v26, v5, v22
	v_sub_f16_e32 v37, v37, v42
	v_sub_f16_e32 v5, v5, v22
	v_add_f16_e32 v22, v18, v27
	v_add_f16_e32 v42, v6, v7
	;; [unrolled: 4-line block ×3, first 2 shown]
	v_sub_f16_e32 v47, v43, v9
	v_add_f16_e32 v48, v20, v46
	v_add_f16_e32 v9, v9, v43
	v_sub_f16_e32 v20, v46, v20
	v_sub_f16_e32 v43, v25, v21
	;; [unrolled: 1-line block ×7, first 2 shown]
	v_add_f16_e32 v45, v18, v37
	v_add_f16_e32 v46, v6, v5
	v_sub_f16_e32 v49, v18, v37
	v_sub_f16_e32 v50, v6, v5
	;; [unrolled: 1-line block ×3, first 2 shown]
	v_add_f16_e32 v7, v22, v7
	v_add_f16_e32 v22, v42, v27
	v_sub_f16_e32 v5, v5, v4
	v_sub_f16_e32 v18, v24, v18
	;; [unrolled: 1-line block ×3, first 2 shown]
	v_add_f16_e32 v24, v45, v24
	v_add_f16_e32 v4, v46, v4
	;; [unrolled: 1-line block ×3, first 2 shown]
	v_add_f16_sdwa v40, v40, v22 dst_sel:DWORD dst_unused:UNUSED_PAD src0_sel:WORD_1 src1_sel:DWORD
	v_mul_f16_e32 v21, 0x3a52, v21
	v_mul_f16_e32 v36, 0x3a52, v36
	;; [unrolled: 1-line block ×8, first 2 shown]
	v_fmamk_f16 v7, v7, 0xbcab, v27
	v_fmamk_f16 v22, v22, 0xbcab, v40
	;; [unrolled: 1-line block ×4, first 2 shown]
	v_fma_f16 v42, v43, 0x39e0, -v42
	v_fma_f16 v45, v44, 0x39e0, -v45
	;; [unrolled: 1-line block ×4, first 2 shown]
	v_fmamk_f16 v43, v18, 0xb574, v46
	v_fmamk_f16 v44, v6, 0xb574, v49
	v_fma_f16 v18, v18, 0x3574, -v50
	v_fma_f16 v6, v6, 0x3574, -v51
	;; [unrolled: 1-line block ×4, first 2 shown]
	v_add_f16_e32 v25, v25, v7
	v_add_f16_e32 v26, v26, v22
	;; [unrolled: 1-line block ×5, first 2 shown]
	v_fmac_f16_e32 v43, 0xb70e, v24
	v_fmac_f16_e32 v44, 0xb70e, v4
	;; [unrolled: 1-line block ×4, first 2 shown]
	v_add_f16_e32 v45, v45, v22
	v_fmac_f16_e32 v37, 0xb70e, v24
	v_fmac_f16_e32 v5, 0xb70e, v4
	v_add_f16_e32 v4, v44, v25
	v_sub_f16_e32 v22, v26, v43
	v_add_f16_e32 v24, v6, v7
	v_sub_f16_e32 v36, v21, v18
	v_sub_f16_e32 v6, v7, v6
	v_add_f16_e32 v7, v18, v21
	v_sub_f16_e32 v18, v25, v44
	v_add_f16_e32 v21, v43, v26
	v_add_f16_e32 v25, v31, v30
	;; [unrolled: 1-line block ×3, first 2 shown]
	v_sub_f16_e32 v30, v31, v30
	v_sub_f16_e32 v0, v0, v29
	v_add_f16_e32 v29, v28, v23
	v_add_f16_e32 v31, v1, v19
	v_sub_f16_e32 v23, v28, v23
	v_sub_f16_e32 v1, v1, v19
	v_add_f16_e32 v19, v35, v38
	v_add_f16_e32 v28, v2, v3
	;; [unrolled: 4-line block ×3, first 2 shown]
	v_sub_f16_e32 v46, v42, v5
	v_add_f16_e32 v49, v37, v45
	v_add_f16_e32 v5, v5, v42
	v_sub_f16_e32 v37, v45, v37
	v_sub_f16_e32 v42, v29, v25
	;; [unrolled: 1-line block ×7, first 2 shown]
	v_add_f16_e32 v44, v35, v23
	v_add_f16_e32 v45, v2, v1
	v_sub_f16_e32 v50, v35, v23
	v_sub_f16_e32 v51, v2, v1
	;; [unrolled: 1-line block ×3, first 2 shown]
	v_add_f16_e32 v3, v19, v3
	v_add_f16_e32 v19, v28, v38
	v_sub_f16_e32 v1, v1, v0
	v_sub_f16_e32 v35, v30, v35
	;; [unrolled: 1-line block ×3, first 2 shown]
	v_add_f16_e32 v28, v44, v30
	v_add_f16_e32 v0, v45, v0
	;; [unrolled: 1-line block ×3, first 2 shown]
	v_add_f16_sdwa v15, v15, v19 dst_sel:DWORD dst_unused:UNUSED_PAD src0_sel:WORD_1 src1_sel:DWORD
	v_mul_f16_e32 v25, 0x3a52, v25
	v_mul_f16_e32 v26, 0x3a52, v26
	;; [unrolled: 1-line block ×8, first 2 shown]
	v_fmamk_f16 v3, v3, 0xbcab, v30
	v_fmamk_f16 v19, v19, 0xbcab, v15
	;; [unrolled: 1-line block ×4, first 2 shown]
	v_fma_f16 v38, v42, 0x39e0, -v38
	v_fma_f16 v44, v43, 0x39e0, -v44
	;; [unrolled: 1-line block ×4, first 2 shown]
	v_fmamk_f16 v42, v35, 0xb574, v45
	v_fmamk_f16 v43, v2, 0xb574, v50
	v_fma_f16 v35, v35, 0x3574, -v51
	v_fma_f16 v2, v2, 0x3574, -v52
	;; [unrolled: 1-line block ×4, first 2 shown]
	v_add_f16_e32 v29, v29, v3
	v_add_f16_e32 v31, v31, v19
	;; [unrolled: 1-line block ×6, first 2 shown]
	v_fmac_f16_e32 v42, 0xb70e, v28
	v_fmac_f16_e32 v43, 0xb70e, v0
	;; [unrolled: 1-line block ×6, first 2 shown]
	v_add_f16_e32 v0, v43, v29
	v_sub_f16_e32 v25, v31, v42
	v_add_f16_e32 v26, v2, v3
	v_sub_f16_e32 v28, v19, v35
	v_sub_f16_e32 v2, v3, v2
	v_add_f16_e32 v3, v35, v19
	v_sub_f16_e32 v19, v29, v43
	v_add_f16_e32 v29, v42, v31
	v_pack_b32_f16 v31, v41, v39
	v_pack_b32_f16 v8, v8, v32
	;; [unrolled: 1-line block ×11, first 2 shown]
	v_sub_f16_e32 v45, v38, v1
	v_add_f16_e32 v50, v23, v44
	v_add_f16_e32 v1, v1, v38
	v_sub_f16_e32 v23, v44, v23
	v_pack_b32_f16 v5, v5, v37
	v_pack_b32_f16 v6, v6, v7
	ds_write2_b32 v57, v31, v27 offset1:13
	ds_write2_b32 v57, v4, v32 offset0:52 offset1:78
	ds_write2_b32 v57, v16, v33 offset0:91 offset1:117
	;; [unrolled: 1-line block ×5, first 2 shown]
	v_pack_b32_f16 v4, v18, v21
	v_pack_b32_f16 v5, v30, v15
	;; [unrolled: 1-line block ×8, first 2 shown]
	ds_write_b32 v57, v4 offset:988
	ds_write2_b32 v57, v5, v8 offset0:26 offset1:39
	ds_write2_b32 v86, v0, v6 offset0:39 offset1:78
	;; [unrolled: 1-line block ×4, first 2 shown]
	s_waitcnt lgkmcnt(0)
	s_barrier
	buffer_gl0_inv
	ds_read2_b32 v[0:1], v57 offset1:21
	s_waitcnt lgkmcnt(0)
	v_lshrrev_b32_e32 v4, 16, v0
	v_lshrrev_b32_e32 v10, 16, v1
	v_mul_f16_sdwa v2, v72, v4 dst_sel:DWORD dst_unused:UNUSED_PAD src0_sel:WORD_1 src1_sel:DWORD
	v_mul_f16_sdwa v11, v71, v10 dst_sel:DWORD dst_unused:UNUSED_PAD src0_sel:WORD_1 src1_sel:DWORD
	v_fmac_f16_e32 v2, v72, v0
	v_mul_f16_sdwa v0, v72, v0 dst_sel:DWORD dst_unused:UNUSED_PAD src0_sel:WORD_1 src1_sel:DWORD
	v_fmac_f16_e32 v11, v71, v1
	v_mul_f16_sdwa v1, v71, v1 dst_sel:DWORD dst_unused:UNUSED_PAD src0_sel:WORD_1 src1_sel:DWORD
	v_cvt_f32_f16_e32 v2, v2
	v_fma_f16 v0, v72, v4, -v0
	v_fma_f16 v1, v71, v10, -v1
	v_cvt_f64_f32_e32 v[2:3], v2
	v_cvt_f32_f16_e32 v0, v0
	v_cvt_f32_f16_e32 v1, v1
	v_cvt_f64_f32_e32 v[4:5], v0
	v_mul_f64 v[2:3], v[2:3], s[4:5]
	v_mul_f64 v[4:5], v[4:5], s[4:5]
	v_and_or_b32 v0, 0x1ff, v3, v2
	v_lshrrev_b32_e32 v2, 8, v3
	v_bfe_u32 v6, v3, 20, 11
	v_cmp_ne_u32_e64 s0, 0, v0
	v_and_or_b32 v4, 0x1ff, v5, v4
	v_lshrrev_b32_e32 v9, 8, v5
	v_bfe_u32 v15, v5, 20, 11
	v_add_nc_u32_e32 v16, 0xfffffc10, v6
	v_cndmask_b32_e64 v0, 0, 1, s0
	v_cmp_ne_u32_e64 s0, 0, v4
	v_cmp_eq_u32_e64 s2, 0x40f, v16
	v_and_or_b32 v2, 0xffe, v2, v0
	v_sub_nc_u32_e32 v0, 0x3f1, v6
	v_cndmask_b32_e64 v4, 0, 1, s0
	v_cvt_f32_f16_e32 v6, v11
	v_or_b32_e32 v7, 0x1000, v2
	v_med3_i32 v0, v0, 0, 13
	v_and_or_b32 v4, 0xffe, v9, v4
	v_sub_nc_u32_e32 v9, 0x3f1, v15
	v_lshl_or_b32 v18, v16, 12, v2
	v_lshrrev_b32_e32 v8, v0, v7
	v_or_b32_e32 v11, 0x1000, v4
	v_med3_i32 v17, v9, 0, 13
	v_lshlrev_b32_e32 v0, v0, v8
	v_lshrrev_b32_e32 v19, v17, v11
	v_cmp_ne_u32_e64 s0, v0, v7
	v_cvt_f64_f32_e32 v[6:7], v6
	v_lshlrev_b32_e32 v17, v17, v19
	v_cndmask_b32_e64 v0, 0, 1, s0
	v_cmp_gt_i32_e64 s0, 1, v16
	v_or_b32_e32 v0, v8, v0
	v_mad_u64_u32 v[8:9], null, s10, v14, 0
	v_cndmask_b32_e64 v18, v18, v0, s0
	v_cmp_ne_u32_e64 s0, v17, v11
	v_add_nc_u32_e32 v17, 0xfffffc10, v15
	v_mov_b32_e32 v0, v9
	v_and_b32_e32 v20, 7, v18
	v_cndmask_b32_e64 v9, 0, 1, s0
	v_lshrrev_b32_e32 v11, 2, v18
	v_lshl_or_b32 v15, v17, 12, v4
	v_mul_f64 v[6:7], v[6:7], s[4:5]
	v_cmp_lt_i32_e64 s0, 5, v20
	v_cmp_eq_u32_e64 s1, 3, v20
	v_or_b32_e32 v9, v19, v9
	s_or_b32 s0, s1, s0
	v_add_co_ci_u32_e64 v11, s0, 0, v11, s0
	v_cmp_gt_i32_e64 s0, 1, v17
	v_cndmask_b32_e64 v15, v15, v9, s0
	v_cmp_ne_u32_e64 s0, 0, v2
	v_and_b32_e32 v18, 7, v15
	v_cndmask_b32_e64 v2, 0, 1, s0
	v_cmp_gt_i32_e64 s0, 31, v16
	v_and_or_b32 v6, 0x1ff, v7, v6
	v_cmp_eq_u32_e64 s1, 3, v18
	v_lshl_or_b32 v19, v2, 9, 0x7c00
	v_cvt_f64_f32_e32 v[1:2], v1
	v_cndmask_b32_e64 v11, 0x7c00, v11, s0
	v_cmp_lt_i32_e64 s0, 5, v18
	v_lshrrev_b32_e32 v18, 16, v3
	v_cndmask_b32_e64 v16, v11, v19, s2
	s_or_b32 s0, s1, s0
	v_bfe_u32 v19, v7, 20, 11
	v_and_or_b32 v16, 0x8000, v18, v16
	v_sub_nc_u32_e32 v20, 0x3f1, v19
	v_add_nc_u32_e32 v19, 0xfffffc10, v19
	v_and_b32_e32 v16, 0xffff, v16
	v_mad_u64_u32 v[9:10], null, s11, v14, v[0:1]
	v_lshrrev_b32_e32 v0, 2, v15
	v_mad_u64_u32 v[10:11], null, s8, v69, 0
	ds_read2_b32 v[14:15], v57 offset0:42 offset1:63
	v_add_co_ci_u32_e64 v3, s0, 0, v0, s0
	v_cmp_ne_u32_e64 s0, 0, v6
	v_lshrrev_b32_e32 v6, 8, v7
	v_lshrrev_b32_e32 v7, 16, v7
	v_cndmask_b32_e64 v0, 0, 1, s0
	v_cmp_ne_u32_e64 s0, 0, v4
	v_and_or_b32 v6, 0xffe, v6, v0
	v_mul_f64 v[0:1], v[1:2], s[4:5]
	v_cndmask_b32_e64 v4, 0, 1, s0
	v_cmp_gt_i32_e64 s0, 31, v17
	v_mov_b32_e32 v2, v11
	v_or_b32_e32 v21, 0x1000, v6
	v_med3_i32 v11, v20, 0, 13
	v_lshl_or_b32 v4, v4, 9, 0x7c00
	v_cndmask_b32_e64 v3, 0x7c00, v3, s0
	v_cmp_eq_u32_e64 s0, 0x40f, v17
	s_waitcnt lgkmcnt(0)
	v_lshrrev_b32_e32 v18, 16, v14
	v_cndmask_b32_e64 v4, v3, v4, s0
	v_mad_u64_u32 v[2:3], null, s9, v69, v[2:3]
	v_lshrrev_b32_e32 v3, 16, v5
	v_lshrrev_b32_e32 v5, v11, v21
	v_and_or_b32 v17, 0x8000, v3, v4
	v_lshlrev_b32_e32 v3, v11, v5
	v_and_or_b32 v0, 0x1ff, v1, v0
	v_mov_b32_e32 v11, v2
	v_lshrrev_b32_e32 v4, 8, v1
	v_bfe_u32 v20, v1, 20, 11
	v_cmp_ne_u32_e64 s0, v3, v21
	v_mul_f16_sdwa v3, v70, v18 dst_sel:DWORD dst_unused:UNUSED_PAD src0_sel:WORD_1 src1_sel:DWORD
	v_lshl_or_b32 v16, v17, 16, v16
	v_lshlrev_b64 v[10:11], 2, v[10:11]
	v_lshrrev_b32_e32 v1, 16, v1
	v_cndmask_b32_e64 v2, 0, 1, s0
	v_cmp_ne_u32_e64 s0, 0, v0
	v_fmac_f16_e32 v3, v70, v14
	v_or_b32_e32 v2, v5, v2
	v_cndmask_b32_e64 v0, 0, 1, s0
	v_lshl_or_b32 v5, v19, 12, v6
	v_cmp_gt_i32_e64 s0, 1, v19
	v_cvt_f32_f16_e32 v21, v3
	v_and_or_b32 v0, 0xffe, v4, v0
	v_sub_nc_u32_e32 v4, 0x3f1, v20
	v_cndmask_b32_e64 v22, v5, v2, s0
	v_lshlrev_b64 v[2:3], 2, v[8:9]
	v_add_nc_u32_e32 v20, 0xfffffc10, v20
	v_or_b32_e32 v23, 0x1000, v0
	v_med3_i32 v24, v4, 0, 13
	v_cvt_f64_f32_e32 v[4:5], v21
	v_and_b32_e32 v8, 7, v22
	v_add_co_u32 v2, s0, s6, v2
	v_lshrrev_b32_e32 v9, v24, v23
	v_add_co_ci_u32_e64 v3, s0, s7, v3, s0
	v_cmp_lt_i32_e64 s0, 5, v8
	v_cmp_eq_u32_e64 s1, 3, v8
	v_lshlrev_b32_e32 v17, v24, v9
	v_mul_f16_sdwa v8, v70, v14 dst_sel:DWORD dst_unused:UNUSED_PAD src0_sel:WORD_1 src1_sel:DWORD
	v_lshrrev_b32_e32 v14, 2, v22
	s_or_b32 s0, s1, s0
	v_cmp_ne_u32_e64 s2, v17, v23
	v_fma_f16 v8, v70, v18, -v8
	v_add_co_ci_u32_e64 v14, s0, 0, v14, s0
	v_cmp_ne_u32_e64 s0, 0, v6
	v_cndmask_b32_e64 v17, 0, 1, s2
	v_cvt_f32_f16_e32 v8, v8
	s_mul_i32 s2, s8, 21
	v_mul_f64 v[4:5], v[4:5], s[4:5]
	v_cndmask_b32_e64 v6, 0, 1, s0
	v_or_b32_e32 v9, v9, v17
	v_lshl_or_b32 v17, v20, 12, v0
	v_cmp_gt_i32_e64 s0, 1, v20
	v_lshl_or_b32 v6, v6, 9, 0x7c00
	v_cndmask_b32_e64 v17, v17, v9, s0
	v_cmp_gt_i32_e64 s0, 31, v19
	v_cvt_f64_f32_e32 v[8:9], v8
	v_and_b32_e32 v18, 7, v17
	v_cndmask_b32_e64 v14, 0x7c00, v14, s0
	v_add_co_u32 v10, s0, v2, v10
	v_add_co_ci_u32_e64 v11, s0, v3, v11, s0
	v_cmp_eq_u32_e64 s0, 0x40f, v19
	v_cmp_eq_u32_e64 s1, 3, v18
	v_and_or_b32 v4, 0x1ff, v5, v4
	global_store_dword v[10:11], v16, off
	v_cndmask_b32_e64 v6, v14, v6, s0
	v_cmp_lt_i32_e64 s0, 5, v18
	v_lshrrev_b32_e32 v14, 2, v17
	v_and_or_b32 v16, 0x8000, v7, v6
	s_or_b32 s0, s1, s0
	s_mul_hi_u32 s1, s8, 21
	v_add_co_ci_u32_e64 v14, s0, 0, v14, s0
	v_cmp_ne_u32_e64 s0, 0, v0
	v_mul_f64 v[6:7], v[8:9], s[4:5]
	v_lshrrev_b32_e32 v8, 8, v5
	v_bfe_u32 v9, v5, 20, 11
	v_and_b32_e32 v16, 0xffff, v16
	v_cndmask_b32_e64 v0, 0, 1, s0
	v_cmp_ne_u32_e64 s0, 0, v4
	v_sub_nc_u32_e32 v17, 0x3f1, v9
	v_lshl_or_b32 v0, v0, 9, 0x7c00
	v_cndmask_b32_e64 v4, 0, 1, s0
	v_cmp_gt_i32_e64 s0, 31, v20
	v_med3_i32 v17, v17, 0, 13
	v_and_or_b32 v4, 0xffe, v8, v4
	v_cndmask_b32_e64 v14, 0x7c00, v14, s0
	v_cmp_eq_u32_e64 s0, 0x40f, v20
	v_lshrrev_b32_e32 v8, 16, v15
	v_cndmask_b32_e64 v0, v14, v0, s0
	v_or_b32_e32 v14, 0x1000, v4
	v_mul_f16_sdwa v18, v68, v8 dst_sel:DWORD dst_unused:UNUSED_PAD src0_sel:WORD_1 src1_sel:DWORD
	v_and_or_b32 v6, 0x1ff, v7, v6
	s_mul_i32 s0, s9, 21
	v_and_or_b32 v20, 0x8000, v1, v0
	v_lshrrev_b32_e32 v19, v17, v14
	v_fmac_f16_e32 v18, v68, v15
	s_add_i32 s3, s1, s0
	v_cmp_ne_u32_e64 s0, 0, v6
	v_bfe_u32 v21, v7, 20, 11
	v_lshlrev_b32_e32 v17, v17, v19
	v_cvt_f32_f16_e32 v0, v18
	v_lshrrev_b32_e32 v18, 8, v7
	v_cndmask_b32_e64 v6, 0, 1, s0
	v_mul_f16_sdwa v15, v68, v15 dst_sel:DWORD dst_unused:UNUSED_PAD src0_sel:WORD_1 src1_sel:DWORD
	v_cmp_ne_u32_e64 s0, v17, v14
	v_cvt_f64_f32_e32 v[0:1], v0
	v_add_nc_u32_e32 v17, 0xfffffc10, v9
	v_and_or_b32 v6, 0xffe, v18, v6
	v_sub_nc_u32_e32 v9, 0x3f1, v21
	v_cndmask_b32_e64 v14, 0, 1, s0
	v_lshl_or_b32 v16, v20, 16, v16
	v_lshl_or_b32 v18, v17, 12, v4
	v_cmp_gt_i32_e64 s0, 1, v17
	v_med3_i32 v9, v9, 0, 13
	v_or_b32_e32 v14, v19, v14
	v_or_b32_e32 v19, 0x1000, v6
	v_fma_f16 v8, v68, v8, -v15
	s_lshl_b64 s[6:7], s[2:3], 2
	v_lshrrev_b32_e32 v7, 16, v7
	v_cndmask_b32_e64 v14, v18, v14, s0
	v_lshrrev_b32_e32 v18, v9, v19
	v_cvt_f32_f16_e32 v22, v8
	v_add_co_u32 v8, s0, v10, s6
	v_and_b32_e32 v15, 7, v14
	v_lshlrev_b32_e32 v20, v9, v18
	v_add_co_ci_u32_e64 v9, s0, s7, v11, s0
	v_mul_f64 v[0:1], v[0:1], s[4:5]
	v_cmp_lt_i32_e64 s0, 5, v15
	v_cmp_ne_u32_e64 s1, v20, v19
	v_cvt_f64_f32_e32 v[10:11], v22
	v_lshrrev_b32_e32 v14, 2, v14
	v_add_nc_u32_e32 v20, 0xfffffc10, v21
	global_store_dword v[8:9], v16, off
	v_cndmask_b32_e64 v19, 0, 1, s1
	v_cmp_eq_u32_e64 s1, 3, v15
	v_lshl_or_b32 v16, v20, 12, v6
	v_or_b32_e32 v15, v18, v19
	s_or_b32 s0, s1, s0
	v_add_co_ci_u32_e64 v14, s0, 0, v14, s0
	v_cmp_ne_u32_e64 s0, 0, v4
	v_cndmask_b32_e64 v4, 0, 1, s0
	v_cmp_gt_i32_e64 s0, 1, v20
	v_and_or_b32 v0, 0x1ff, v1, v0
	v_mul_f64 v[10:11], v[10:11], s[4:5]
	v_lshrrev_b32_e32 v21, 8, v1
	v_lshl_or_b32 v4, v4, 9, 0x7c00
	v_cndmask_b32_e64 v16, v16, v15, s0
	v_cmp_gt_i32_e64 s0, 31, v17
	v_bfe_u32 v22, v1, 20, 11
	v_and_b32_e32 v19, 7, v16
	v_cndmask_b32_e64 v18, 0x7c00, v14, s0
	v_cmp_ne_u32_e64 s0, 0, v0
	ds_read2_b32 v[14:15], v57 offset0:84 offset1:105
	v_cmp_eq_u32_e64 s1, 3, v19
	v_cndmask_b32_e64 v0, 0, 1, s0
	v_cmp_eq_u32_e64 s0, 0x40f, v17
	v_and_or_b32 v0, 0xffe, v21, v0
	v_cndmask_b32_e64 v17, v18, v4, s0
	v_cmp_lt_i32_e64 s0, 5, v19
	v_lshrrev_b32_e32 v18, 16, v5
	v_lshrrev_b32_e32 v5, 2, v16
	v_sub_nc_u32_e32 v4, 0x3f1, v22
	v_or_b32_e32 v16, 0x1000, v0
	s_or_b32 s0, s1, s0
	v_and_or_b32 v10, 0x1ff, v11, v10
	v_add_co_ci_u32_e64 v5, s0, 0, v5, s0
	v_med3_i32 v4, v4, 0, 13
	v_cmp_ne_u32_e64 s0, 0, v6
	s_waitcnt lgkmcnt(0)
	v_lshrrev_b32_e32 v21, 16, v14
	v_lshrrev_b32_e32 v24, 8, v11
	v_bfe_u32 v25, v11, 20, 11
	v_lshrrev_b32_e32 v19, v4, v16
	v_cndmask_b32_e64 v6, 0, 1, s0
	v_cmp_gt_i32_e64 s0, 31, v20
	v_and_or_b32 v17, 0x8000, v18, v17
	v_lshrrev_b32_e32 v11, 16, v11
	v_lshlrev_b32_e32 v4, v4, v19
	v_lshl_or_b32 v6, v6, 9, 0x7c00
	v_cndmask_b32_e64 v23, 0x7c00, v5, s0
	v_cmp_ne_u32_e64 s0, 0, v10
	v_mul_f16_sdwa v5, v67, v21 dst_sel:DWORD dst_unused:UNUSED_PAD src0_sel:WORD_1 src1_sel:DWORD
	v_and_b32_e32 v17, 0xffff, v17
	v_cndmask_b32_e64 v10, 0, 1, s0
	v_cmp_ne_u32_e64 s0, v4, v16
	v_fmac_f16_e32 v5, v67, v14
	v_add_nc_u32_e32 v16, 0xfffffc10, v22
	v_sub_nc_u32_e32 v22, 0x3f1, v25
	v_and_or_b32 v10, 0xffe, v24, v10
	v_cndmask_b32_e64 v4, 0, 1, s0
	v_cvt_f32_f16_e32 v5, v5
	v_lshl_or_b32 v24, v16, 12, v0
	v_med3_i32 v22, v22, 0, 13
	v_or_b32_e32 v26, 0x1000, v10
	v_or_b32_e32 v19, v19, v4
	v_cmp_gt_i32_e64 s0, 1, v16
	v_cvt_f64_f32_e32 v[4:5], v5
	v_mul_f16_sdwa v14, v67, v14 dst_sel:DWORD dst_unused:UNUSED_PAD src0_sel:WORD_1 src1_sel:DWORD
	v_cndmask_b32_e64 v19, v24, v19, s0
	v_cmp_eq_u32_e64 s0, 0x40f, v20
	v_lshrrev_b32_e32 v20, v22, v26
	v_and_b32_e32 v18, 7, v19
	v_cndmask_b32_e64 v6, v23, v6, s0
	v_lshlrev_b32_e32 v22, v22, v20
	v_cmp_lt_i32_e64 s0, 5, v18
	v_and_or_b32 v23, 0x8000, v7, v6
	v_cmp_ne_u32_e64 s1, v22, v26
	v_fma_f16 v6, v67, v21, -v14
	v_add_nc_u32_e32 v14, 0xfffffc10, v25
	v_lshl_or_b32 v17, v23, 16, v17
	v_cndmask_b32_e64 v7, 0, 1, s1
	v_cmp_eq_u32_e64 s1, 3, v18
	v_lshrrev_b32_e32 v18, 2, v19
	v_cvt_f32_f16_e32 v6, v6
	v_mul_f64 v[4:5], v[4:5], s[4:5]
	v_or_b32_e32 v19, v20, v7
	s_or_b32 s0, s1, s0
	v_lshl_or_b32 v20, v14, 12, v10
	v_add_co_ci_u32_e64 v18, s0, 0, v18, s0
	v_cmp_ne_u32_e64 s0, 0, v0
	v_cvt_f64_f32_e32 v[6:7], v6
	v_cndmask_b32_e64 v0, 0, 1, s0
	v_cmp_gt_i32_e64 s0, 1, v14
	v_lshl_or_b32 v0, v0, 9, 0x7c00
	v_cndmask_b32_e64 v19, v20, v19, s0
	v_cmp_gt_i32_e64 s0, 31, v16
	v_and_or_b32 v4, 0x1ff, v5, v4
	v_cndmask_b32_e64 v18, 0x7c00, v18, s0
	v_add_co_u32 v8, s0, v8, s6
	v_add_co_ci_u32_e64 v9, s0, s7, v9, s0
	v_cmp_eq_u32_e64 s0, 0x40f, v16
	v_and_b32_e32 v20, 7, v19
	v_cmp_ne_u32_e64 s2, 0, v4
	v_lshrrev_b32_e32 v19, 2, v19
	v_bfe_u32 v21, v5, 20, 11
	v_cndmask_b32_e64 v16, v18, v0, s0
	v_lshrrev_b32_e32 v18, 16, v1
	v_mul_f64 v[0:1], v[6:7], s[4:5]
	v_cmp_lt_i32_e64 s0, 5, v20
	v_cmp_eq_u32_e64 s1, 3, v20
	v_lshrrev_b32_e32 v20, 16, v15
	v_cndmask_b32_e64 v4, 0, 1, s2
	v_lshrrev_b32_e32 v6, 8, v5
	v_and_or_b32 v16, 0x8000, v18, v16
	s_or_b32 s0, s1, s0
	v_mul_f16_sdwa v7, v66, v20 dst_sel:DWORD dst_unused:UNUSED_PAD src0_sel:WORD_1 src1_sel:DWORD
	v_add_co_ci_u32_e64 v19, s0, 0, v19, s0
	v_and_or_b32 v4, 0xffe, v6, v4
	v_sub_nc_u32_e32 v6, 0x3f1, v21
	v_cmp_ne_u32_e64 s0, 0, v10
	v_fmac_f16_e32 v7, v66, v15
	v_add_nc_u32_e32 v21, 0xfffffc10, v21
	v_or_b32_e32 v22, 0x1000, v4
	v_med3_i32 v23, v6, 0, 13
	v_cndmask_b32_e64 v10, 0, 1, s0
	v_cmp_gt_i32_e64 s0, 31, v14
	v_cvt_f32_f16_e32 v6, v7
	v_and_b32_e32 v16, 0xffff, v16
	v_lshrrev_b32_e32 v24, v23, v22
	v_lshl_or_b32 v10, v10, 9, 0x7c00
	v_cndmask_b32_e64 v19, 0x7c00, v19, s0
	v_and_or_b32 v0, 0x1ff, v1, v0
	v_cmp_eq_u32_e64 s0, 0x40f, v14
	v_cvt_f64_f32_e32 v[6:7], v6
	v_lshlrev_b32_e32 v14, v23, v24
	v_lshrrev_b32_e32 v18, 8, v1
	v_mul_f16_sdwa v15, v66, v15 dst_sel:DWORD dst_unused:UNUSED_PAD src0_sel:WORD_1 src1_sel:DWORD
	v_cndmask_b32_e64 v10, v19, v10, s0
	v_cmp_ne_u32_e64 s0, 0, v0
	v_bfe_u32 v19, v1, 20, 11
	global_store_dword v[8:9], v17, off
	v_fma_f16 v15, v66, v20, -v15
	v_and_or_b32 v10, 0x8000, v11, v10
	v_cndmask_b32_e64 v0, 0, 1, s0
	v_cmp_ne_u32_e64 s0, v14, v22
	v_lshl_or_b32 v22, v21, 12, v4
	v_cvt_f32_f16_e32 v15, v15
	v_lshl_or_b32 v16, v10, 16, v16
	v_and_or_b32 v0, 0xffe, v18, v0
	v_cndmask_b32_e64 v14, 0, 1, s0
	v_sub_nc_u32_e32 v18, 0x3f1, v19
	v_cmp_gt_i32_e64 s0, 1, v21
	v_lshrrev_b32_e32 v5, 16, v5
	v_or_b32_e32 v11, 0x1000, v0
	v_or_b32_e32 v14, v24, v14
	v_med3_i32 v18, v18, 0, 13
	v_mul_f64 v[6:7], v[6:7], s[4:5]
	v_cndmask_b32_e64 v14, v22, v14, s0
	v_lshrrev_b32_e32 v22, v18, v11
	v_and_b32_e32 v23, 7, v14
	v_lshlrev_b32_e32 v10, v18, v22
	v_lshrrev_b32_e32 v14, 2, v14
	v_add_nc_u32_e32 v18, 0xfffffc10, v19
	v_cmp_lt_i32_e64 s0, 5, v23
	v_cmp_eq_u32_e64 s1, 3, v23
	v_cmp_ne_u32_e64 s2, v10, v11
	v_cvt_f64_f32_e32 v[10:11], v15
	v_lshl_or_b32 v15, v18, 12, v0
	s_or_b32 s0, s1, s0
	v_cndmask_b32_e64 v17, 0, 1, s2
	v_add_co_ci_u32_e64 v19, s0, 0, v14, s0
	v_cmp_ne_u32_e64 s0, 0, v4
	v_and_or_b32 v6, 0x1ff, v7, v6
	v_or_b32_e32 v14, v22, v17
	v_lshrrev_b32_e32 v20, 8, v7
	v_bfe_u32 v22, v7, 20, 11
	v_cndmask_b32_e64 v4, 0, 1, s0
	v_cmp_gt_i32_e64 s0, 1, v18
	v_lshl_or_b32 v4, v4, 9, 0x7c00
	v_cndmask_b32_e64 v17, v15, v14, s0
	v_cmp_ne_u32_e64 s0, 0, v6
	ds_read2_b32 v[14:15], v57 offset0:126 offset1:147
	v_mul_f64 v[10:11], v[10:11], s[4:5]
	v_and_b32_e32 v23, 7, v17
	v_cndmask_b32_e64 v6, 0, 1, s0
	v_cmp_gt_i32_e64 s0, 31, v21
	v_cmp_eq_u32_e64 s1, 3, v23
	v_and_or_b32 v6, 0xffe, v20, v6
	v_cndmask_b32_e64 v19, 0x7c00, v19, s0
	v_cmp_eq_u32_e64 s0, 0x40f, v21
	v_sub_nc_u32_e32 v20, 0x3f1, v22
	v_cndmask_b32_e64 v4, v19, v4, s0
	v_cmp_lt_i32_e64 s0, 5, v23
	v_or_b32_e32 v19, 0x1000, v6
	v_med3_i32 v20, v20, 0, 13
	v_and_or_b32 v21, 0x8000, v5, v4
	v_lshrrev_b32_e32 v4, 2, v17
	s_or_b32 s0, s1, s0
	v_lshrrev_b32_e32 v23, v20, v19
	s_waitcnt lgkmcnt(0)
	v_lshrrev_b32_e32 v17, 16, v14
	v_bfe_u32 v25, v11, 20, 11
	v_add_co_ci_u32_e64 v4, s0, 0, v4, s0
	v_cmp_ne_u32_e64 s0, 0, v0
	v_lshlrev_b32_e32 v20, v20, v23
	v_mul_f16_sdwa v5, v65, v17 dst_sel:DWORD dst_unused:UNUSED_PAD src0_sel:WORD_1 src1_sel:DWORD
	v_cndmask_b32_e64 v0, 0, 1, s0
	v_cmp_gt_i32_e64 s0, 31, v18
	v_fmac_f16_e32 v5, v65, v14
	v_mul_f16_sdwa v14, v65, v14 dst_sel:DWORD dst_unused:UNUSED_PAD src0_sel:WORD_1 src1_sel:DWORD
	v_lshl_or_b32 v0, v0, 9, 0x7c00
	v_cndmask_b32_e64 v24, 0x7c00, v4, s0
	v_and_or_b32 v4, 0x1ff, v11, v10
	v_cmp_ne_u32_e64 s0, v20, v19
	v_cvt_f32_f16_e32 v5, v5
	v_add_nc_u32_e32 v19, 0xfffffc10, v22
	v_lshrrev_b32_e32 v22, 8, v11
	v_lshrrev_b32_e32 v11, 16, v11
	v_cndmask_b32_e64 v10, 0, 1, s0
	v_cmp_ne_u32_e64 s0, 0, v4
	v_cvt_f64_f32_e32 v[4:5], v5
	v_cndmask_b32_e64 v20, 0, 1, s0
	v_cmp_eq_u32_e64 s0, 0x40f, v18
	v_and_or_b32 v20, 0xffe, v22, v20
	v_sub_nc_u32_e32 v22, 0x3f1, v25
	v_cndmask_b32_e64 v18, v24, v0, s0
	v_or_b32_e32 v0, v23, v10
	v_lshl_or_b32 v10, v19, 12, v6
	v_cmp_gt_i32_e64 s0, 1, v19
	v_or_b32_e32 v24, 0x1000, v20
	v_med3_i32 v22, v22, 0, 13
	v_lshrrev_b32_e32 v23, 16, v1
	v_cndmask_b32_e64 v10, v10, v0, s0
	v_add_co_u32 v0, s0, v8, s6
	v_add_co_ci_u32_e64 v1, s0, s7, v9, s0
	v_lshrrev_b32_e32 v9, v22, v24
	v_and_or_b32 v8, 0x8000, v23, v18
	v_and_b32_e32 v18, 0xffff, v21
	v_and_b32_e32 v21, 7, v10
	v_mul_f64 v[4:5], v[4:5], s[4:5]
	v_lshlrev_b32_e32 v22, v22, v9
	v_lshrrev_b32_e32 v10, 2, v10
	v_lshl_or_b32 v18, v8, 16, v18
	v_fma_f16 v8, v65, v17, -v14
	v_cmp_lt_i32_e64 s0, 5, v21
	v_cmp_ne_u32_e64 s1, v22, v24
	global_store_dword v[0:1], v16, off
	v_add_nc_u32_e32 v16, 0xfffffc10, v25
	v_cvt_f32_f16_e32 v8, v8
	v_cndmask_b32_e64 v14, 0, 1, s1
	v_cmp_eq_u32_e64 s1, 3, v21
	v_lshl_or_b32 v17, v16, 12, v20
	v_or_b32_e32 v14, v9, v14
	s_or_b32 s0, s1, s0
	v_cvt_f64_f32_e32 v[8:9], v8
	v_add_co_ci_u32_e64 v10, s0, 0, v10, s0
	v_cmp_ne_u32_e64 s0, 0, v6
	v_and_or_b32 v4, 0x1ff, v5, v4
	v_lshrrev_b32_e32 v21, 8, v5
	v_bfe_u32 v22, v5, 20, 11
	v_cndmask_b32_e64 v6, 0, 1, s0
	v_cmp_gt_i32_e64 s0, 1, v16
	v_lshl_or_b32 v6, v6, 9, 0x7c00
	v_cndmask_b32_e64 v14, v17, v14, s0
	v_cmp_gt_i32_e64 s0, 31, v19
	v_and_b32_e32 v17, 7, v14
	v_cndmask_b32_e64 v10, 0x7c00, v10, s0
	v_cmp_ne_u32_e64 s0, 0, v4
	v_cmp_eq_u32_e64 s1, 3, v17
	v_cndmask_b32_e64 v4, 0, 1, s0
	v_cmp_eq_u32_e64 s0, 0x40f, v19
	v_lshrrev_b32_e32 v19, 16, v7
	v_and_or_b32 v4, 0xffe, v21, v4
	v_cndmask_b32_e64 v10, v10, v6, s0
	v_cmp_lt_i32_e64 s0, 5, v17
	v_mul_f64 v[6:7], v[8:9], s[4:5]
	v_lshrrev_b32_e32 v8, 2, v14
	v_sub_nc_u32_e32 v21, 0x3f1, v22
	v_or_b32_e32 v9, 0x1000, v4
	s_or_b32 s0, s1, s0
	v_lshrrev_b32_e32 v17, 16, v15
	v_add_co_ci_u32_e64 v8, s0, 0, v8, s0
	v_med3_i32 v14, v21, 0, 13
	v_cmp_ne_u32_e64 s0, 0, v20
	v_mul_f16_sdwa v23, v64, v17 dst_sel:DWORD dst_unused:UNUSED_PAD src0_sel:WORD_1 src1_sel:DWORD
	v_and_or_b32 v10, 0x8000, v19, v10
	v_add_nc_u32_e32 v19, 0xfffffc10, v22
	v_lshrrev_b32_e32 v21, v14, v9
	v_cndmask_b32_e64 v20, 0, 1, s0
	v_cmp_gt_i32_e64 s0, 31, v16
	v_fmac_f16_e32 v23, v64, v15
	v_and_b32_e32 v10, 0xffff, v10
	v_lshlrev_b32_e32 v14, v14, v21
	v_lshl_or_b32 v20, v20, 9, 0x7c00
	v_cndmask_b32_e64 v8, 0x7c00, v8, s0
	v_cmp_eq_u32_e64 s0, 0x40f, v16
	v_and_or_b32 v6, 0x1ff, v7, v6
	v_bfe_u32 v22, v7, 20, 11
	v_mul_f16_sdwa v15, v64, v15 dst_sel:DWORD dst_unused:UNUSED_PAD src0_sel:WORD_1 src1_sel:DWORD
	v_cndmask_b32_e64 v16, v8, v20, s0
	v_cmp_ne_u32_e64 s0, v14, v9
	v_cvt_f32_f16_e32 v8, v23
	v_lshrrev_b32_e32 v20, 8, v7
	v_fma_f16 v15, v64, v17, -v15
	v_and_or_b32 v11, 0x8000, v11, v16
	v_cndmask_b32_e64 v14, 0, 1, s0
	v_cmp_ne_u32_e64 s0, 0, v6
	v_cvt_f64_f32_e32 v[8:9], v8
	v_lshl_or_b32 v16, v19, 12, v4
	v_cvt_f32_f16_e32 v15, v15
	v_or_b32_e32 v14, v21, v14
	v_cndmask_b32_e64 v6, 0, 1, s0
	v_cmp_gt_i32_e64 s0, 1, v19
	v_lshl_or_b32 v21, v11, 16, v10
	v_and_or_b32 v6, 0xffe, v20, v6
	v_sub_nc_u32_e32 v20, 0x3f1, v22
	v_cndmask_b32_e64 v14, v16, v14, s0
	v_add_co_u32 v0, s0, v0, s6
	v_or_b32_e32 v16, 0x1000, v6
	v_med3_i32 v20, v20, 0, 13
	v_add_co_ci_u32_e64 v1, s0, s7, v1, s0
	v_and_b32_e32 v23, 7, v14
	v_add_co_u32 v10, s0, v0, s6
	v_lshrrev_b32_e32 v24, v20, v16
	v_mul_f64 v[8:9], v[8:9], s[4:5]
	v_add_co_ci_u32_e64 v11, s0, s7, v1, s0
	v_cmp_lt_i32_e64 s0, 5, v23
	v_lshlrev_b32_e32 v20, v20, v24
	v_cmp_eq_u32_e64 s1, 3, v23
	v_lshrrev_b32_e32 v14, 2, v14
	v_cmp_ne_u32_e64 s2, v20, v16
	s_or_b32 s0, s1, s0
	v_add_nc_u32_e32 v20, 0xfffffc10, v22
	v_add_co_ci_u32_e64 v22, s0, 0, v14, s0
	v_cndmask_b32_e64 v16, 0, 1, s2
	v_cmp_ne_u32_e64 s0, 0, v4
	v_cvt_f64_f32_e32 v[14:15], v15
	v_or_b32_e32 v23, v24, v16
	v_lshl_or_b32 v24, v20, 12, v6
	v_cndmask_b32_e64 v4, 0, 1, s0
	v_cmp_gt_i32_e64 s0, 1, v20
	v_and_or_b32 v8, 0x1ff, v9, v8
	ds_read2_b32 v[16:17], v57 offset0:168 offset1:189
	v_lshrrev_b32_e32 v25, 8, v9
	v_lshl_or_b32 v4, v4, 9, 0x7c00
	v_cndmask_b32_e64 v23, v24, v23, s0
	v_cmp_gt_i32_e64 s0, 31, v19
	v_bfe_u32 v26, v9, 20, 11
	global_store_dword v[0:1], v18, off
	global_store_dword v[10:11], v21, off
	v_lshrrev_b32_e32 v9, 16, v9
	v_and_b32_e32 v24, 7, v23
	v_cndmask_b32_e64 v22, 0x7c00, v22, s0
	v_cmp_ne_u32_e64 s0, 0, v8
	v_cmp_eq_u32_e64 s1, 3, v24
	v_cndmask_b32_e64 v8, 0, 1, s0
	v_cmp_eq_u32_e64 s0, 0x40f, v19
	v_and_or_b32 v8, 0xffe, v25, v8
	v_cndmask_b32_e64 v19, v22, v4, s0
	v_cmp_lt_i32_e64 s0, 5, v24
	v_lshrrev_b32_e32 v22, 16, v5
	v_mul_f64 v[4:5], v[14:15], s[4:5]
	v_lshrrev_b32_e32 v15, 2, v23
	v_sub_nc_u32_e32 v25, 0x3f1, v26
	s_or_b32 s0, s1, s0
	v_or_b32_e32 v23, 0x1000, v8
	s_waitcnt lgkmcnt(0)
	v_lshrrev_b32_e32 v14, 16, v16
	v_add_co_ci_u32_e64 v15, s0, 0, v15, s0
	v_med3_i32 v24, v25, 0, 13
	v_cmp_ne_u32_e64 s0, 0, v6
	v_mul_f16_sdwa v25, v63, v14 dst_sel:DWORD dst_unused:UNUSED_PAD src0_sel:WORD_1 src1_sel:DWORD
	v_and_or_b32 v19, 0x8000, v22, v19
	v_lshrrev_b32_e32 v27, v24, v23
	v_cndmask_b32_e64 v6, 0, 1, s0
	v_cmp_gt_i32_e64 s0, 31, v20
	v_fmac_f16_e32 v25, v63, v16
	v_and_b32_e32 v19, 0xffff, v19
	v_lshlrev_b32_e32 v22, v24, v27
	v_lshl_or_b32 v6, v6, 9, 0x7c00
	v_cndmask_b32_e64 v15, 0x7c00, v15, s0
	v_cmp_eq_u32_e64 s0, 0x40f, v20
	v_and_or_b32 v4, 0x1ff, v5, v4
	v_cvt_f32_f16_e32 v24, v25
	v_lshrrev_b32_e32 v20, 16, v7
	v_bfe_u32 v25, v5, 20, 11
	v_cndmask_b32_e64 v15, v15, v6, s0
	v_cmp_ne_u32_e64 s0, v22, v23
	v_cvt_f64_f32_e32 v[6:7], v24
	v_add_nc_u32_e32 v23, 0xfffffc10, v26
	v_lshrrev_b32_e32 v24, 8, v5
	v_and_or_b32 v15, 0x8000, v20, v15
	v_cndmask_b32_e64 v22, 0, 1, s0
	v_cmp_ne_u32_e64 s0, 0, v4
	v_lshl_or_b32 v15, v15, 16, v19
	v_or_b32_e32 v20, v27, v22
	v_cndmask_b32_e64 v4, 0, 1, s0
	v_lshl_or_b32 v22, v23, 12, v8
	v_cmp_gt_i32_e64 s0, 1, v23
	v_and_or_b32 v4, 0xffe, v24, v4
	v_sub_nc_u32_e32 v24, 0x3f1, v25
	v_cndmask_b32_e64 v20, v22, v20, s0
	v_or_b32_e32 v22, 0x1000, v4
	v_med3_i32 v24, v24, 0, 13
	v_and_b32_e32 v18, 7, v20
	v_mul_f64 v[0:1], v[6:7], s[4:5]
	v_add_co_u32 v6, s0, v10, s6
	v_lshrrev_b32_e32 v19, v24, v22
	v_add_co_ci_u32_e64 v7, s0, s7, v11, s0
	v_cmp_lt_i32_e64 s0, 5, v18
	v_cmp_eq_u32_e64 s1, 3, v18
	v_lshlrev_b32_e32 v10, v24, v19
	v_mul_f16_sdwa v11, v63, v16 dst_sel:DWORD dst_unused:UNUSED_PAD src0_sel:WORD_1 src1_sel:DWORD
	v_lshrrev_b32_e32 v16, 2, v20
	global_store_dword v[6:7], v15, off
	s_or_b32 s0, s1, s0
	v_cmp_ne_u32_e64 s2, v10, v22
	v_fma_f16 v11, v63, v14, -v11
	v_add_co_ci_u32_e64 v16, s0, 0, v16, s0
	v_add_nc_u32_e32 v14, 0xfffffc10, v25
	v_cndmask_b32_e64 v10, 0, 1, s2
	v_cmp_ne_u32_e64 s0, 0, v8
	v_cvt_f32_f16_e32 v11, v11
	v_and_or_b32 v0, 0x1ff, v1, v0
	v_or_b32_e32 v18, v19, v10
	v_lshl_or_b32 v19, v14, 12, v4
	v_cndmask_b32_e64 v8, 0, 1, s0
	v_cmp_gt_i32_e64 s0, 1, v14
	v_cvt_f64_f32_e32 v[10:11], v11
	v_lshrrev_b32_e32 v20, 8, v1
	v_bfe_u32 v21, v1, 20, 11
	v_lshl_or_b32 v8, v8, 9, 0x7c00
	v_cndmask_b32_e64 v18, v19, v18, s0
	v_cmp_gt_i32_e64 s0, 31, v23
	v_and_b32_e32 v19, 7, v18
	v_cndmask_b32_e64 v16, 0x7c00, v16, s0
	v_cmp_ne_u32_e64 s0, 0, v0
	v_lshrrev_b32_e32 v18, 2, v18
	v_cmp_eq_u32_e64 s1, 3, v19
	v_cndmask_b32_e64 v0, 0, 1, s0
	v_cmp_eq_u32_e64 s0, 0x40f, v23
	v_and_or_b32 v0, 0xffe, v20, v0
	v_cndmask_b32_e64 v8, v16, v8, s0
	v_cmp_lt_i32_e64 s0, 5, v19
	v_lshrrev_b32_e32 v19, 16, v17
	v_mul_f64 v[10:11], v[10:11], s[4:5]
	v_sub_nc_u32_e32 v16, 0x3f1, v21
	v_or_b32_e32 v20, 0x1000, v0
	s_or_b32 s0, s1, s0
	v_mul_f16_sdwa v22, v62, v19 dst_sel:DWORD dst_unused:UNUSED_PAD src0_sel:WORD_1 src1_sel:DWORD
	v_add_co_ci_u32_e64 v18, s0, 0, v18, s0
	v_cmp_ne_u32_e64 s0, 0, v4
	v_med3_i32 v16, v16, 0, 13
	v_fmac_f16_e32 v22, v62, v17
	v_and_or_b32 v8, 0x8000, v9, v8
	v_mul_f16_sdwa v17, v62, v17 dst_sel:DWORD dst_unused:UNUSED_PAD src0_sel:WORD_1 src1_sel:DWORD
	v_cndmask_b32_e64 v4, 0, 1, s0
	v_cmp_gt_i32_e64 s0, 31, v14
	v_lshrrev_b32_e32 v23, v16, v20
	v_cvt_f32_f16_e32 v22, v22
	v_and_b32_e32 v8, 0xffff, v8
	v_lshl_or_b32 v4, v4, 9, 0x7c00
	v_cndmask_b32_e64 v18, 0x7c00, v18, s0
	v_cmp_eq_u32_e64 s0, 0x40f, v14
	v_lshlrev_b32_e32 v16, v16, v23
	v_and_or_b32 v10, 0x1ff, v11, v10
	v_cndmask_b32_e64 v14, v18, v4, s0
	v_lshrrev_b32_e32 v18, 16, v5
	v_cvt_f64_f32_e32 v[4:5], v22
	v_cmp_ne_u32_e64 s0, v16, v20
	v_add_nc_u32_e32 v20, 0xfffffc10, v21
	v_bfe_u32 v21, v11, 20, 11
	v_and_or_b32 v9, 0x8000, v18, v14
	v_lshrrev_b32_e32 v18, 8, v11
	v_cndmask_b32_e64 v16, 0, 1, s0
	v_cmp_ne_u32_e64 s0, 0, v10
	v_sub_nc_u32_e32 v15, 0x3f1, v21
	v_lshl_or_b32 v8, v9, 16, v8
	v_lshrrev_b32_e32 v11, 16, v11
	v_or_b32_e32 v14, v23, v16
	v_cndmask_b32_e64 v10, 0, 1, s0
	v_lshl_or_b32 v16, v20, 12, v0
	v_cmp_gt_i32_e64 s0, 1, v20
	v_med3_i32 v15, v15, 0, 13
	v_and_or_b32 v10, 0xffe, v18, v10
	v_cndmask_b32_e64 v14, v16, v14, s0
	v_add_co_u32 v6, s0, v6, s6
	v_mul_f64 v[4:5], v[4:5], s[4:5]
	v_or_b32_e32 v16, 0x1000, v10
	v_and_b32_e32 v9, 7, v14
	v_add_co_ci_u32_e64 v7, s0, s7, v7, s0
	v_lshrrev_b32_e32 v18, v15, v16
	v_cmp_lt_i32_e64 s0, 5, v9
	v_cmp_eq_u32_e64 s1, 3, v9
	global_store_dword v[6:7], v8, off
	v_lshrrev_b32_e32 v8, 2, v14
	v_lshlrev_b32_e32 v14, v15, v18
	v_fma_f16 v15, v62, v19, -v17
	s_or_b32 s0, s1, s0
	v_add_nc_u32_e32 v19, 0xfffffc10, v21
	v_add_co_ci_u32_e64 v17, s0, 0, v8, s0
	v_cmp_ne_u32_e64 s0, v14, v16
	ds_read2_b32 v[8:9], v57 offset0:210 offset1:231
	v_cvt_f32_f16_e32 v14, v15
	v_cndmask_b32_e64 v16, 0, 1, s0
	v_and_or_b32 v4, 0x1ff, v5, v4
	v_cmp_gt_i32_e64 s0, 31, v20
	v_cvt_f64_f32_e32 v[14:15], v14
	v_lshrrev_b32_e32 v21, 8, v5
	v_or_b32_e32 v16, v18, v16
	v_lshl_or_b32 v18, v19, 12, v10
	v_cndmask_b32_e64 v17, 0x7c00, v17, s0
	v_cmp_ne_u32_e64 s0, 0, v4
	v_bfe_u32 v22, v5, 20, 11
	v_cndmask_b32_e64 v4, 0, 1, s0
	v_cmp_ne_u32_e64 s0, 0, v0
	v_and_or_b32 v4, 0xffe, v21, v4
	v_cndmask_b32_e64 v0, 0, 1, s0
	v_cmp_gt_i32_e64 s0, 1, v19
	s_waitcnt lgkmcnt(0)
	v_lshrrev_b32_e32 v21, 16, v8
	v_or_b32_e32 v24, 0x1000, v4
	v_lshl_or_b32 v0, v0, 9, 0x7c00
	v_cndmask_b32_e64 v16, v18, v16, s0
	v_sub_nc_u32_e32 v18, 0x3f1, v22
	v_cmp_eq_u32_e64 s0, 0x40f, v20
	v_mul_f16_sdwa v25, v61, v21 dst_sel:DWORD dst_unused:UNUSED_PAD src0_sel:WORD_1 src1_sel:DWORD
	v_mul_f64 v[14:15], v[14:15], s[4:5]
	v_and_b32_e32 v23, 7, v16
	v_med3_i32 v18, v18, 0, 13
	v_cndmask_b32_e64 v17, v17, v0, s0
	v_lshrrev_b32_e32 v0, 2, v16
	v_fmac_f16_e32 v25, v61, v8
	v_cmp_lt_i32_e64 s0, 5, v23
	v_cmp_eq_u32_e64 s1, 3, v23
	v_lshrrev_b32_e32 v20, v18, v24
	v_lshrrev_b32_e32 v23, 16, v1
	v_cvt_f32_f16_e32 v1, v25
	v_add_nc_u32_e32 v22, 0xfffffc10, v22
	s_or_b32 s0, s1, s0
	v_lshlrev_b32_e32 v16, v18, v20
	v_add_co_ci_u32_e64 v18, s0, 0, v0, s0
	v_cmp_ne_u32_e64 s0, 0, v10
	v_cvt_f64_f32_e32 v[0:1], v1
	v_and_or_b32 v17, 0x8000, v23, v17
	v_mul_f16_sdwa v8, v61, v8 dst_sel:DWORD dst_unused:UNUSED_PAD src0_sel:WORD_1 src1_sel:DWORD
	v_lshrrev_b32_e32 v25, 16, v9
	v_cndmask_b32_e64 v10, 0, 1, s0
	v_cmp_ne_u32_e64 s0, v16, v24
	v_and_or_b32 v14, 0x1ff, v15, v14
	v_and_b32_e32 v17, 0xffff, v17
	v_fma_f16 v8, v61, v21, -v8
	v_lshl_or_b32 v10, v10, 9, 0x7c00
	v_cndmask_b32_e64 v16, 0, 1, s0
	v_cmp_gt_i32_e64 s0, 31, v19
	v_cvt_f32_f16_e32 v8, v8
	v_or_b32_e32 v16, v20, v16
	v_cndmask_b32_e64 v18, 0x7c00, v18, s0
	v_cmp_eq_u32_e64 s0, 0x40f, v19
	v_lshl_or_b32 v20, v22, 12, v4
	v_bfe_u32 v19, v15, 20, 11
	v_cndmask_b32_e64 v10, v18, v10, s0
	v_cmp_gt_i32_e64 s0, 1, v22
	v_lshrrev_b32_e32 v18, 8, v15
	v_mul_f64 v[0:1], v[0:1], s[4:5]
	v_lshrrev_b32_e32 v15, 16, v15
	v_and_or_b32 v10, 0x8000, v11, v10
	v_cndmask_b32_e64 v16, v20, v16, s0
	v_cmp_ne_u32_e64 s0, 0, v14
	v_lshl_or_b32 v17, v10, 16, v17
	v_and_b32_e32 v20, 7, v16
	v_cndmask_b32_e64 v14, 0, 1, s0
	v_lshrrev_b32_e32 v16, 2, v16
	v_cmp_lt_i32_e64 s0, 5, v20
	v_and_or_b32 v14, 0xffe, v18, v14
	v_sub_nc_u32_e32 v18, 0x3f1, v19
	v_cmp_eq_u32_e64 s1, 3, v20
	v_or_b32_e32 v11, 0x1000, v14
	v_med3_i32 v18, v18, 0, 13
	s_or_b32 s0, s1, s0
	v_and_or_b32 v0, 0x1ff, v1, v0
	v_add_co_ci_u32_e64 v16, s0, 0, v16, s0
	v_lshrrev_b32_e32 v20, v18, v11
	v_cmp_gt_i32_e64 s0, 31, v22
	v_bfe_u32 v21, v1, 20, 11
	v_lshlrev_b32_e32 v10, v18, v20
	v_cndmask_b32_e64 v16, 0x7c00, v16, s0
	v_cmp_ne_u32_e64 s0, v10, v11
	v_cvt_f64_f32_e32 v[10:11], v8
	v_add_nc_u32_e32 v8, 0xfffffc10, v19
	v_lshrrev_b32_e32 v19, 8, v1
	v_lshrrev_b32_e32 v1, 16, v1
	v_cndmask_b32_e64 v18, 0, 1, s0
	v_cmp_ne_u32_e64 s0, 0, v0
	v_or_b32_e32 v18, v20, v18
	v_cndmask_b32_e64 v0, 0, 1, s0
	v_cmp_ne_u32_e64 s0, 0, v4
	v_lshl_or_b32 v20, v8, 12, v14
	v_and_or_b32 v0, 0xffe, v19, v0
	v_cndmask_b32_e64 v4, 0, 1, s0
	v_cmp_gt_i32_e64 s0, 1, v8
	v_sub_nc_u32_e32 v19, 0x3f1, v21
	v_lshl_or_b32 v4, v4, 9, 0x7c00
	v_cndmask_b32_e64 v18, v20, v18, s0
	v_cmp_eq_u32_e64 s0, 0x40f, v22
	v_or_b32_e32 v20, 0x1000, v0
	v_med3_i32 v19, v19, 0, 13
	v_lshrrev_b32_e32 v22, 16, v5
	v_and_b32_e32 v23, 7, v18
	v_cndmask_b32_e64 v16, v16, v4, s0
	v_mul_f64 v[4:5], v[10:11], s[4:5]
	v_lshrrev_b32_e32 v24, v19, v20
	v_add_co_u32 v6, s0, v6, s6
	v_add_co_ci_u32_e64 v7, s0, s7, v7, s0
	v_lshlrev_b32_e32 v11, v19, v24
	v_mul_f16_sdwa v10, v60, v25 dst_sel:DWORD dst_unused:UNUSED_PAD src0_sel:WORD_1 src1_sel:DWORD
	v_cmp_lt_i32_e64 s0, 5, v23
	v_cmp_eq_u32_e64 s1, 3, v23
	v_lshrrev_b32_e32 v18, 2, v18
	v_cmp_ne_u32_e64 s2, v11, v20
	v_fmac_f16_e32 v10, v60, v9
	v_add_nc_u32_e32 v19, 0xfffffc10, v21
	s_or_b32 s0, s1, s0
	v_and_or_b32 v16, 0x8000, v22, v16
	v_add_co_ci_u32_e64 v18, s0, 0, v18, s0
	v_cndmask_b32_e64 v11, 0, 1, s2
	v_cmp_ne_u32_e64 s0, 0, v14
	v_cvt_f32_f16_e32 v10, v10
	v_lshl_or_b32 v21, v19, 12, v0
	v_and_or_b32 v4, 0x1ff, v5, v4
	v_or_b32_e32 v20, v24, v11
	v_cndmask_b32_e64 v14, 0, 1, s0
	v_cmp_gt_i32_e64 s0, 1, v19
	v_cvt_f64_f32_e32 v[10:11], v10
	v_bfe_u32 v22, v5, 20, 11
	v_and_b32_e32 v16, 0xffff, v16
	v_lshl_or_b32 v14, v14, 9, 0x7c00
	v_cndmask_b32_e64 v20, v21, v20, s0
	v_cmp_ne_u32_e64 s0, 0, v4
	v_lshrrev_b32_e32 v21, 8, v5
	v_mul_f16_sdwa v9, v60, v9 dst_sel:DWORD dst_unused:UNUSED_PAD src0_sel:WORD_1 src1_sel:DWORD
	v_and_b32_e32 v23, 7, v20
	v_cndmask_b32_e64 v4, 0, 1, s0
	v_cmp_gt_i32_e64 s0, 31, v8
	v_fma_f16 v9, v60, v25, -v9
	v_cmp_eq_u32_e64 s1, 3, v23
	v_and_or_b32 v4, 0xffe, v21, v4
	v_cndmask_b32_e64 v18, 0x7c00, v18, s0
	v_cmp_eq_u32_e64 s0, 0x40f, v8
	ds_read_b32 v21, v57 offset:1008
	v_cndmask_b32_e64 v8, v18, v14, s0
	v_sub_nc_u32_e32 v14, 0x3f1, v22
	v_cmp_lt_i32_e64 s0, 5, v23
	v_mul_f64 v[10:11], v[10:11], s[4:5]
	v_or_b32_e32 v18, 0x1000, v4
	v_and_or_b32 v8, 0x8000, v15, v8
	v_lshrrev_b32_e32 v15, 2, v20
	v_med3_i32 v14, v14, 0, 13
	s_or_b32 s0, s1, s0
	v_lshl_or_b32 v16, v8, 16, v16
	v_add_co_ci_u32_e64 v15, s0, 0, v15, s0
	v_lshrrev_b32_e32 v20, v14, v18
	v_cmp_ne_u32_e64 s0, 0, v0
	v_lshlrev_b32_e32 v8, v14, v20
	v_cndmask_b32_e64 v0, 0, 1, s0
	v_cmp_gt_i32_e64 s0, 31, v19
	v_lshl_or_b32 v0, v0, 9, 0x7c00
	v_cndmask_b32_e64 v14, 0x7c00, v15, s0
	v_cmp_ne_u32_e64 s0, v8, v18
	v_and_or_b32 v10, 0x1ff, v11, v10
	v_add_nc_u32_e32 v18, 0xfffffc10, v22
	v_cndmask_b32_e64 v8, 0, 1, s0
	v_cmp_eq_u32_e64 s0, 0x40f, v19
	v_lshl_or_b32 v15, v18, 12, v4
	v_lshrrev_b32_e32 v19, 8, v11
	v_cndmask_b32_e64 v0, v14, v0, s0
	v_cmp_ne_u32_e64 s0, 0, v10
	v_or_b32_e32 v14, v20, v8
	v_cvt_f32_f16_e32 v8, v9
	v_bfe_u32 v20, v11, 20, 11
	v_and_or_b32 v27, 0x8000, v1, v0
	v_cndmask_b32_e64 v10, 0, 1, s0
	v_cmp_gt_i32_e64 s0, 1, v18
	v_cvt_f64_f32_e32 v[8:9], v8
	v_lshrrev_b32_e32 v11, 16, v11
	v_and_or_b32 v10, 0xffe, v19, v10
	v_cndmask_b32_e64 v22, v15, v14, s0
	v_sub_nc_u32_e32 v14, 0x3f1, v20
	s_waitcnt lgkmcnt(0)
	v_lshrrev_b32_e32 v19, 16, v21
	v_add_nc_u32_e32 v20, 0xfffffc10, v20
	v_or_b32_e32 v24, 0x1000, v10
	v_and_b32_e32 v23, 7, v22
	v_med3_i32 v25, v14, 0, 13
	v_mul_f16_sdwa v26, v59, v19 dst_sel:DWORD dst_unused:UNUSED_PAD src0_sel:WORD_1 src1_sel:DWORD
	v_add_co_u32 v14, s0, v6, s6
	v_add_co_ci_u32_e64 v15, s0, s7, v7, s0
	v_lshrrev_b32_e32 v28, v25, v24
	v_fmac_f16_e32 v26, v59, v21
	v_cmp_lt_i32_e64 s0, 5, v23
	v_cmp_eq_u32_e64 s1, 3, v23
	v_lshrrev_b32_e32 v22, 2, v22
	v_lshlrev_b32_e32 v23, v25, v28
	v_cvt_f32_f16_e32 v25, v26
	v_mul_f64 v[0:1], v[8:9], s[4:5]
	s_or_b32 s0, s1, s0
	v_mul_f16_sdwa v21, v59, v21 dst_sel:DWORD dst_unused:UNUSED_PAD src0_sel:WORD_1 src1_sel:DWORD
	v_add_co_ci_u32_e64 v22, s0, 0, v22, s0
	v_cmp_ne_u32_e64 s0, v23, v24
	v_cvt_f64_f32_e32 v[8:9], v25
	v_lshl_or_b32 v24, v20, 12, v10
	v_fma_f16 v19, v59, v19, -v21
	v_cndmask_b32_e64 v23, 0, 1, s0
	v_cmp_ne_u32_e64 s0, 0, v4
	v_cvt_f32_f16_e32 v19, v19
	v_or_b32_e32 v23, v28, v23
	v_cndmask_b32_e64 v4, 0, 1, s0
	v_cmp_gt_i32_e64 s0, 31, v18
	v_lshl_or_b32 v4, v4, 9, 0x7c00
	v_cndmask_b32_e64 v21, 0x7c00, v22, s0
	v_cmp_gt_i32_e64 s0, 1, v20
	v_and_or_b32 v0, 0x1ff, v1, v0
	v_cndmask_b32_e64 v22, v24, v23, s0
	v_cmp_eq_u32_e64 s0, 0x40f, v18
	v_mul_f64 v[8:9], v[8:9], s[4:5]
	v_lshrrev_b32_e32 v23, 8, v1
	v_bfe_u32 v24, v1, 20, 11
	v_lshrrev_b32_e32 v1, 16, v1
	v_cndmask_b32_e64 v18, v21, v4, s0
	v_lshrrev_b32_e32 v21, 16, v5
	v_cvt_f64_f32_e32 v[4:5], v19
	v_cmp_ne_u32_e64 s0, 0, v0
	v_and_b32_e32 v19, 7, v22
	v_and_or_b32 v18, 0x8000, v21, v18
	v_and_b32_e32 v21, 0xffff, v27
	v_cndmask_b32_e64 v0, 0, 1, s0
	v_cmp_lt_i32_e64 s0, 5, v19
	v_cmp_eq_u32_e64 s1, 3, v19
	v_lshrrev_b32_e32 v19, 2, v22
	v_lshl_or_b32 v18, v18, 16, v21
	v_and_or_b32 v0, 0xffe, v23, v0
	v_sub_nc_u32_e32 v23, 0x3f1, v24
	s_or_b32 s0, s1, s0
	v_add_co_ci_u32_e64 v19, s0, 0, v19, s0
	v_or_b32_e32 v21, 0x1000, v0
	v_med3_i32 v22, v23, 0, 13
	v_cmp_ne_u32_e64 s0, 0, v10
	v_and_or_b32 v8, 0x1ff, v9, v8
	v_lshrrev_b32_e32 v25, 8, v9
	v_mul_f64 v[4:5], v[4:5], s[4:5]
	v_lshrrev_b32_e32 v23, v22, v21
	v_cndmask_b32_e64 v10, 0, 1, s0
	v_cmp_gt_i32_e64 s0, 31, v20
	v_bfe_u32 v26, v9, 20, 11
	v_lshrrev_b32_e32 v9, 16, v9
	v_lshlrev_b32_e32 v22, v22, v23
	v_lshl_or_b32 v10, v10, 9, 0x7c00
	v_cndmask_b32_e64 v19, 0x7c00, v19, s0
	v_cmp_ne_u32_e64 s0, 0, v8
	v_cndmask_b32_e64 v8, 0, 1, s0
	v_cmp_ne_u32_e64 s0, v22, v21
	v_add_nc_u32_e32 v22, 0xfffffc10, v24
	v_sub_nc_u32_e32 v24, 0x3f1, v26
	v_and_or_b32 v8, 0xffe, v25, v8
	v_cndmask_b32_e64 v21, 0, 1, s0
	v_cmp_eq_u32_e64 s0, 0x40f, v20
	v_lshl_or_b32 v20, v22, 12, v0
	v_and_or_b32 v4, 0x1ff, v5, v4
	v_bfe_u32 v25, v5, 20, 11
	v_cndmask_b32_e64 v10, v19, v10, s0
	v_or_b32_e32 v19, v23, v21
	v_or_b32_e32 v21, 0x1000, v8
	v_med3_i32 v23, v24, 0, 13
	v_cmp_gt_i32_e64 s0, 1, v22
	v_lshrrev_b32_e32 v24, 8, v5
	v_and_or_b32 v10, 0x8000, v11, v10
	v_sub_nc_u32_e32 v11, 0x3f1, v25
	v_cndmask_b32_e64 v19, v20, v19, s0
	v_lshrrev_b32_e32 v20, v23, v21
	v_cmp_ne_u32_e64 s0, 0, v4
	v_med3_i32 v11, v11, 0, 13
	v_and_b32_e32 v27, 7, v19
	v_lshlrev_b32_e32 v23, v23, v20
	v_cndmask_b32_e64 v4, 0, 1, s0
	v_lshrrev_b32_e32 v19, 2, v19
	v_cmp_lt_i32_e64 s0, 5, v27
	v_cmp_ne_u32_e64 s1, v23, v21
	v_and_or_b32 v4, 0xffe, v24, v4
	v_add_nc_u32_e32 v24, 0xfffffc10, v26
	v_cndmask_b32_e64 v21, 0, 1, s1
	v_cmp_eq_u32_e64 s1, 3, v27
	v_or_b32_e32 v23, 0x1000, v4
	v_lshl_or_b32 v26, v24, 12, v8
	v_or_b32_e32 v20, v20, v21
	s_or_b32 s0, s1, s0
	v_lshrrev_b32_e32 v21, v11, v23
	v_add_co_ci_u32_e64 v19, s0, 0, v19, s0
	v_cmp_gt_i32_e64 s0, 1, v24
	v_lshlrev_b32_e32 v11, v11, v21
	v_cndmask_b32_e64 v20, v26, v20, s0
	v_cmp_ne_u32_e64 s0, 0, v0
	v_cndmask_b32_e64 v0, 0, 1, s0
	v_cmp_ne_u32_e64 s0, v11, v23
	v_add_nc_u32_e32 v23, 0xfffffc10, v25
	v_and_b32_e32 v25, 7, v20
	v_lshl_or_b32 v0, v0, 9, 0x7c00
	v_cndmask_b32_e64 v11, 0, 1, s0
	v_cmp_gt_i32_e64 s0, 31, v22
	v_cmp_gt_i32_e64 s2, 1, v23
	v_cmp_eq_u32_e64 s1, 3, v25
	v_or_b32_e32 v11, v21, v11
	v_lshl_or_b32 v21, v23, 12, v4
	v_cndmask_b32_e64 v19, 0x7c00, v19, s0
	v_cmp_lt_i32_e64 s0, 5, v25
	v_cndmask_b32_e64 v11, v21, v11, s2
	v_cmp_eq_u32_e64 s2, 0x40f, v22
	s_or_b32 s0, s1, s0
	v_cndmask_b32_e64 v0, v19, v0, s2
	v_lshrrev_b32_e32 v19, 2, v20
	v_and_b32_e32 v20, 7, v11
	v_lshrrev_b32_e32 v11, 2, v11
	v_cmp_gt_i32_e64 s2, 31, v24
	v_and_or_b32 v0, 0x8000, v1, v0
	v_add_co_ci_u32_e64 v19, s0, 0, v19, s0
	v_cmp_ne_u32_e64 s0, 0, v8
	v_cmp_eq_u32_e64 s1, 3, v20
	v_and_b32_e32 v1, 0xffff, v10
	v_cndmask_b32_e64 v19, 0x7c00, v19, s2
	v_lshrrev_b32_e32 v10, 16, v5
	v_cndmask_b32_e64 v8, 0, 1, s0
	v_cmp_lt_i32_e64 s0, 5, v20
	v_lshl_or_b32 v8, v8, 9, 0x7c00
	s_or_b32 s0, s1, s0
	v_add_co_ci_u32_e64 v11, s0, 0, v11, s0
	v_cmp_ne_u32_e64 s0, 0, v4
	v_cndmask_b32_e64 v4, 0, 1, s0
	v_cmp_eq_u32_e64 s0, 0x40f, v24
	v_lshl_or_b32 v4, v4, 9, 0x7c00
	v_cndmask_b32_e64 v8, v19, v8, s0
	v_cmp_gt_i32_e64 s0, 31, v23
	v_and_or_b32 v8, 0x8000, v9, v8
	v_cndmask_b32_e64 v11, 0x7c00, v11, s0
	v_cmp_eq_u32_e64 s0, 0x40f, v23
	v_cndmask_b32_e64 v9, v11, v4, s0
	v_add_co_u32 v4, s0, v14, s6
	v_add_co_ci_u32_e64 v5, s0, s7, v15, s0
	v_lshl_or_b32 v11, v0, 16, v1
	v_and_or_b32 v0, 0x8000, v10, v9
	v_and_b32_e32 v1, 0xffff, v8
	v_add_co_u32 v8, s0, v4, s6
	v_add_co_ci_u32_e64 v9, s0, s7, v5, s0
	v_lshl_or_b32 v10, v0, 16, v1
	v_add_co_u32 v0, s0, v8, s6
	v_add_co_ci_u32_e64 v1, s0, s7, v9, s0
	global_store_dword v[6:7], v17, off
	global_store_dword v[14:15], v16, off
	;; [unrolled: 1-line block ×5, first 2 shown]
	s_and_b32 exec_lo, exec_lo, vcc_lo
	s_cbranch_execz .LBB0_15
; %bb.14:
	global_load_dword v6, v[12:13], off offset:52
	ds_read2_b32 v[4:5], v57 offset0:13 offset1:34
	v_mad_u64_u32 v[0:1], null, 0xfffffc44, s8, v[0:1]
	s_waitcnt lgkmcnt(0)
	v_lshrrev_b32_e32 v7, 16, v4
	s_waitcnt vmcnt(0)
	v_mul_f16_sdwa v8, v7, v6 dst_sel:DWORD dst_unused:UNUSED_PAD src0_sel:DWORD src1_sel:WORD_1
	v_mul_f16_sdwa v9, v4, v6 dst_sel:DWORD dst_unused:UNUSED_PAD src0_sel:DWORD src1_sel:WORD_1
	v_fmac_f16_e32 v8, v4, v6
	v_fma_f16 v4, v6, v7, -v9
	v_cvt_f32_f16_e32 v6, v8
	v_cvt_f32_f16_e32 v4, v4
	v_cvt_f64_f32_e32 v[6:7], v6
	v_cvt_f64_f32_e32 v[8:9], v4
	v_mul_f64 v[6:7], v[6:7], s[4:5]
	v_mul_f64 v[8:9], v[8:9], s[4:5]
	v_and_or_b32 v4, 0x1ff, v7, v6
	v_and_or_b32 v8, 0x1ff, v9, v8
	v_lshrrev_b32_e32 v6, 8, v7
	v_bfe_u32 v10, v7, 20, 11
	v_lshrrev_b32_e32 v11, 8, v9
	v_cmp_ne_u32_e32 vcc_lo, 0, v4
	v_bfe_u32 v14, v9, 20, 11
	v_lshrrev_b32_e32 v7, 16, v7
	v_sub_nc_u32_e32 v15, 0x3f1, v10
	v_add_nc_u32_e32 v10, 0xfffffc10, v10
	v_cndmask_b32_e64 v4, 0, 1, vcc_lo
	v_cmp_ne_u32_e32 vcc_lo, 0, v8
	v_lshrrev_b32_e32 v9, 16, v9
	v_and_or_b32 v4, 0xffe, v6, v4
	v_cndmask_b32_e64 v8, 0, 1, vcc_lo
	v_sub_nc_u32_e32 v6, 0x3f1, v14
	v_add_nc_u32_e32 v14, 0xfffffc10, v14
	v_and_or_b32 v8, 0xffe, v11, v8
	v_med3_i32 v11, v15, 0, 13
	v_or_b32_e32 v15, 0x1000, v4
	v_med3_i32 v6, v6, 0, 13
	v_or_b32_e32 v16, 0x1000, v8
	v_lshrrev_b32_e32 v17, v11, v15
	v_lshrrev_b32_e32 v18, v6, v16
	v_lshlrev_b32_e32 v11, v11, v17
	v_lshlrev_b32_e32 v6, v6, v18
	v_cmp_ne_u32_e32 vcc_lo, v11, v15
	v_lshl_or_b32 v15, v10, 12, v4
	v_cndmask_b32_e64 v11, 0, 1, vcc_lo
	v_cmp_ne_u32_e32 vcc_lo, v6, v16
	v_lshl_or_b32 v16, v14, 12, v8
	v_or_b32_e32 v11, v17, v11
	v_cndmask_b32_e64 v6, 0, 1, vcc_lo
	v_cmp_gt_i32_e32 vcc_lo, 1, v10
	v_or_b32_e32 v6, v18, v6
	v_cndmask_b32_e32 v11, v15, v11, vcc_lo
	v_cmp_gt_i32_e32 vcc_lo, 1, v14
	v_and_b32_e32 v15, 7, v11
	v_cndmask_b32_e32 v6, v16, v6, vcc_lo
	v_cmp_ne_u32_e32 vcc_lo, 0, v4
	v_lshrrev_b32_e32 v11, 2, v11
	v_cmp_eq_u32_e64 s0, 3, v15
	v_and_b32_e32 v16, 7, v6
	v_cndmask_b32_e64 v4, 0, 1, vcc_lo
	v_cmp_ne_u32_e32 vcc_lo, 0, v8
	v_lshrrev_b32_e32 v6, 2, v6
	v_cmp_lt_i32_e64 s1, 5, v16
	v_cmp_eq_u32_e64 s2, 3, v16
	v_cndmask_b32_e64 v8, 0, 1, vcc_lo
	v_cmp_lt_i32_e32 vcc_lo, 5, v15
	v_lshl_or_b32 v4, v4, 9, 0x7c00
	v_lshl_or_b32 v8, v8, 9, 0x7c00
	s_or_b32 vcc_lo, s0, vcc_lo
	s_mul_i32 s0, s9, 0xfffffc44
	v_add_co_ci_u32_e32 v11, vcc_lo, 0, v11, vcc_lo
	s_or_b32 vcc_lo, s2, s1
	s_sub_i32 s0, s0, s8
	v_add_co_ci_u32_e32 v6, vcc_lo, 0, v6, vcc_lo
	v_cmp_gt_i32_e32 vcc_lo, 31, v10
	v_add_nc_u32_e32 v1, s0, v1
	v_cndmask_b32_e32 v11, 0x7c00, v11, vcc_lo
	v_cmp_gt_i32_e32 vcc_lo, 31, v14
	v_cndmask_b32_e32 v6, 0x7c00, v6, vcc_lo
	v_cmp_eq_u32_e32 vcc_lo, 0x40f, v10
	v_cndmask_b32_e32 v4, v11, v4, vcc_lo
	v_cmp_eq_u32_e32 vcc_lo, 0x40f, v14
	v_and_or_b32 v4, 0x8000, v7, v4
	v_cndmask_b32_e32 v6, v6, v8, vcc_lo
	v_and_b32_e32 v4, 0xffff, v4
	v_and_or_b32 v6, 0x8000, v9, v6
	v_lshl_or_b32 v4, v6, 16, v4
	v_lshrrev_b32_e32 v6, 16, v5
	global_store_dword v[0:1], v4, off
	global_load_dword v4, v[12:13], off offset:136
	s_waitcnt vmcnt(0)
	v_mul_f16_sdwa v7, v6, v4 dst_sel:DWORD dst_unused:UNUSED_PAD src0_sel:DWORD src1_sel:WORD_1
	v_mul_f16_sdwa v8, v5, v4 dst_sel:DWORD dst_unused:UNUSED_PAD src0_sel:DWORD src1_sel:WORD_1
	v_fmac_f16_e32 v7, v5, v4
	v_fma_f16 v4, v4, v6, -v8
	v_cvt_f32_f16_e32 v5, v7
	v_cvt_f32_f16_e32 v6, v4
	v_cvt_f64_f32_e32 v[4:5], v5
	v_cvt_f64_f32_e32 v[6:7], v6
	v_mul_f64 v[4:5], v[4:5], s[4:5]
	v_mul_f64 v[6:7], v[6:7], s[4:5]
	v_and_or_b32 v4, 0x1ff, v5, v4
	v_and_or_b32 v6, 0x1ff, v7, v6
	v_lshrrev_b32_e32 v8, 8, v5
	v_bfe_u32 v9, v5, 20, 11
	v_lshrrev_b32_e32 v10, 8, v7
	v_cmp_ne_u32_e32 vcc_lo, 0, v4
	v_bfe_u32 v11, v7, 20, 11
	v_lshrrev_b32_e32 v5, 16, v5
	v_sub_nc_u32_e32 v14, 0x3f1, v9
	v_add_nc_u32_e32 v9, 0xfffffc10, v9
	v_cndmask_b32_e64 v4, 0, 1, vcc_lo
	v_cmp_ne_u32_e32 vcc_lo, 0, v6
	v_lshrrev_b32_e32 v7, 16, v7
	v_and_or_b32 v4, 0xffe, v8, v4
	v_cndmask_b32_e64 v6, 0, 1, vcc_lo
	v_sub_nc_u32_e32 v8, 0x3f1, v11
	v_add_nc_u32_e32 v11, 0xfffffc10, v11
	v_and_or_b32 v6, 0xffe, v10, v6
	v_med3_i32 v10, v14, 0, 13
	v_or_b32_e32 v14, 0x1000, v4
	v_med3_i32 v8, v8, 0, 13
	v_or_b32_e32 v15, 0x1000, v6
	v_lshrrev_b32_e32 v16, v10, v14
	v_lshrrev_b32_e32 v17, v8, v15
	v_lshlrev_b32_e32 v10, v10, v16
	v_lshlrev_b32_e32 v8, v8, v17
	v_cmp_ne_u32_e32 vcc_lo, v10, v14
	v_lshl_or_b32 v14, v9, 12, v4
	v_cndmask_b32_e64 v10, 0, 1, vcc_lo
	v_cmp_ne_u32_e32 vcc_lo, v8, v15
	v_lshl_or_b32 v15, v11, 12, v6
	v_or_b32_e32 v10, v16, v10
	v_cndmask_b32_e64 v8, 0, 1, vcc_lo
	v_cmp_gt_i32_e32 vcc_lo, 1, v9
	v_or_b32_e32 v8, v17, v8
	v_cndmask_b32_e32 v10, v14, v10, vcc_lo
	v_cmp_gt_i32_e32 vcc_lo, 1, v11
	v_and_b32_e32 v14, 7, v10
	v_cndmask_b32_e32 v8, v15, v8, vcc_lo
	v_cmp_ne_u32_e32 vcc_lo, 0, v4
	v_lshrrev_b32_e32 v10, 2, v10
	v_cmp_eq_u32_e64 s0, 3, v14
	v_and_b32_e32 v15, 7, v8
	v_cndmask_b32_e64 v4, 0, 1, vcc_lo
	v_cmp_ne_u32_e32 vcc_lo, 0, v6
	v_lshrrev_b32_e32 v8, 2, v8
	v_cmp_lt_i32_e64 s1, 5, v15
	v_cmp_eq_u32_e64 s2, 3, v15
	v_cndmask_b32_e64 v6, 0, 1, vcc_lo
	v_cmp_lt_i32_e32 vcc_lo, 5, v14
	v_lshl_or_b32 v4, v4, 9, 0x7c00
	v_lshl_or_b32 v6, v6, 9, 0x7c00
	s_or_b32 vcc_lo, s0, vcc_lo
	v_add_co_ci_u32_e32 v10, vcc_lo, 0, v10, vcc_lo
	s_or_b32 vcc_lo, s2, s1
	v_add_co_ci_u32_e32 v8, vcc_lo, 0, v8, vcc_lo
	v_cmp_gt_i32_e32 vcc_lo, 31, v9
	v_cndmask_b32_e32 v10, 0x7c00, v10, vcc_lo
	v_cmp_gt_i32_e32 vcc_lo, 31, v11
	v_cndmask_b32_e32 v8, 0x7c00, v8, vcc_lo
	v_cmp_eq_u32_e32 vcc_lo, 0x40f, v9
	v_cndmask_b32_e32 v4, v10, v4, vcc_lo
	v_cmp_eq_u32_e32 vcc_lo, 0x40f, v11
	v_and_or_b32 v4, 0x8000, v5, v4
	v_cndmask_b32_e32 v6, v8, v6, vcc_lo
	v_add_co_u32 v0, vcc_lo, v0, s6
	v_add_co_ci_u32_e32 v1, vcc_lo, s7, v1, vcc_lo
	v_and_or_b32 v5, 0x8000, v7, v6
	v_and_b32_e32 v4, 0xffff, v4
	v_lshl_or_b32 v4, v5, 16, v4
	global_store_dword v[0:1], v4, off
	global_load_dword v6, v[12:13], off offset:220
	ds_read2_b32 v[4:5], v57 offset0:55 offset1:76
	s_waitcnt lgkmcnt(0)
	v_lshrrev_b32_e32 v7, 16, v4
	s_waitcnt vmcnt(0)
	v_mul_f16_sdwa v8, v7, v6 dst_sel:DWORD dst_unused:UNUSED_PAD src0_sel:DWORD src1_sel:WORD_1
	v_mul_f16_sdwa v9, v4, v6 dst_sel:DWORD dst_unused:UNUSED_PAD src0_sel:DWORD src1_sel:WORD_1
	v_fmac_f16_e32 v8, v4, v6
	v_fma_f16 v4, v6, v7, -v9
	v_cvt_f32_f16_e32 v6, v8
	v_cvt_f32_f16_e32 v4, v4
	v_cvt_f64_f32_e32 v[6:7], v6
	v_cvt_f64_f32_e32 v[8:9], v4
	v_mul_f64 v[6:7], v[6:7], s[4:5]
	v_mul_f64 v[8:9], v[8:9], s[4:5]
	v_and_or_b32 v4, 0x1ff, v7, v6
	v_and_or_b32 v8, 0x1ff, v9, v8
	v_lshrrev_b32_e32 v6, 8, v7
	v_bfe_u32 v10, v7, 20, 11
	v_lshrrev_b32_e32 v11, 8, v9
	v_cmp_ne_u32_e32 vcc_lo, 0, v4
	v_bfe_u32 v14, v9, 20, 11
	v_lshrrev_b32_e32 v7, 16, v7
	v_sub_nc_u32_e32 v15, 0x3f1, v10
	v_add_nc_u32_e32 v10, 0xfffffc10, v10
	v_cndmask_b32_e64 v4, 0, 1, vcc_lo
	v_cmp_ne_u32_e32 vcc_lo, 0, v8
	v_lshrrev_b32_e32 v9, 16, v9
	v_and_or_b32 v4, 0xffe, v6, v4
	v_cndmask_b32_e64 v8, 0, 1, vcc_lo
	v_sub_nc_u32_e32 v6, 0x3f1, v14
	v_add_nc_u32_e32 v14, 0xfffffc10, v14
	v_and_or_b32 v8, 0xffe, v11, v8
	v_med3_i32 v11, v15, 0, 13
	v_or_b32_e32 v15, 0x1000, v4
	v_med3_i32 v6, v6, 0, 13
	v_or_b32_e32 v16, 0x1000, v8
	v_lshrrev_b32_e32 v17, v11, v15
	v_lshrrev_b32_e32 v18, v6, v16
	v_lshlrev_b32_e32 v11, v11, v17
	v_lshlrev_b32_e32 v6, v6, v18
	v_cmp_ne_u32_e32 vcc_lo, v11, v15
	v_lshl_or_b32 v15, v10, 12, v4
	v_cndmask_b32_e64 v11, 0, 1, vcc_lo
	v_cmp_ne_u32_e32 vcc_lo, v6, v16
	v_lshl_or_b32 v16, v14, 12, v8
	v_or_b32_e32 v11, v17, v11
	v_cndmask_b32_e64 v6, 0, 1, vcc_lo
	v_cmp_gt_i32_e32 vcc_lo, 1, v10
	v_or_b32_e32 v6, v18, v6
	v_cndmask_b32_e32 v11, v15, v11, vcc_lo
	v_cmp_gt_i32_e32 vcc_lo, 1, v14
	v_and_b32_e32 v15, 7, v11
	v_cndmask_b32_e32 v6, v16, v6, vcc_lo
	v_cmp_ne_u32_e32 vcc_lo, 0, v4
	v_lshrrev_b32_e32 v11, 2, v11
	v_cmp_eq_u32_e64 s0, 3, v15
	v_and_b32_e32 v16, 7, v6
	v_cndmask_b32_e64 v4, 0, 1, vcc_lo
	v_cmp_ne_u32_e32 vcc_lo, 0, v8
	v_lshrrev_b32_e32 v6, 2, v6
	v_cmp_lt_i32_e64 s1, 5, v16
	v_cmp_eq_u32_e64 s2, 3, v16
	v_cndmask_b32_e64 v8, 0, 1, vcc_lo
	v_cmp_lt_i32_e32 vcc_lo, 5, v15
	v_lshl_or_b32 v4, v4, 9, 0x7c00
	v_lshl_or_b32 v8, v8, 9, 0x7c00
	s_or_b32 vcc_lo, s0, vcc_lo
	v_add_co_ci_u32_e32 v11, vcc_lo, 0, v11, vcc_lo
	s_or_b32 vcc_lo, s2, s1
	v_add_co_ci_u32_e32 v6, vcc_lo, 0, v6, vcc_lo
	v_cmp_gt_i32_e32 vcc_lo, 31, v10
	v_cndmask_b32_e32 v11, 0x7c00, v11, vcc_lo
	v_cmp_gt_i32_e32 vcc_lo, 31, v14
	v_cndmask_b32_e32 v6, 0x7c00, v6, vcc_lo
	v_cmp_eq_u32_e32 vcc_lo, 0x40f, v10
	v_cndmask_b32_e32 v4, v11, v4, vcc_lo
	v_cmp_eq_u32_e32 vcc_lo, 0x40f, v14
	v_and_or_b32 v4, 0x8000, v7, v4
	v_cndmask_b32_e32 v6, v6, v8, vcc_lo
	v_add_co_u32 v0, vcc_lo, v0, s6
	v_add_co_ci_u32_e32 v1, vcc_lo, s7, v1, vcc_lo
	v_and_or_b32 v6, 0x8000, v9, v6
	v_and_b32_e32 v4, 0xffff, v4
	v_lshl_or_b32 v4, v6, 16, v4
	v_lshrrev_b32_e32 v6, 16, v5
	global_store_dword v[0:1], v4, off
	global_load_dword v4, v[12:13], off offset:304
	s_waitcnt vmcnt(0)
	v_mul_f16_sdwa v7, v6, v4 dst_sel:DWORD dst_unused:UNUSED_PAD src0_sel:DWORD src1_sel:WORD_1
	v_mul_f16_sdwa v8, v5, v4 dst_sel:DWORD dst_unused:UNUSED_PAD src0_sel:DWORD src1_sel:WORD_1
	v_fmac_f16_e32 v7, v5, v4
	v_fma_f16 v4, v4, v6, -v8
	v_cvt_f32_f16_e32 v5, v7
	v_cvt_f32_f16_e32 v6, v4
	v_cvt_f64_f32_e32 v[4:5], v5
	v_cvt_f64_f32_e32 v[6:7], v6
	v_mul_f64 v[4:5], v[4:5], s[4:5]
	v_mul_f64 v[6:7], v[6:7], s[4:5]
	v_and_or_b32 v4, 0x1ff, v5, v4
	v_and_or_b32 v6, 0x1ff, v7, v6
	v_lshrrev_b32_e32 v8, 8, v5
	v_bfe_u32 v9, v5, 20, 11
	v_lshrrev_b32_e32 v10, 8, v7
	v_cmp_ne_u32_e32 vcc_lo, 0, v4
	v_bfe_u32 v11, v7, 20, 11
	v_lshrrev_b32_e32 v5, 16, v5
	v_sub_nc_u32_e32 v14, 0x3f1, v9
	v_add_nc_u32_e32 v9, 0xfffffc10, v9
	v_cndmask_b32_e64 v4, 0, 1, vcc_lo
	v_cmp_ne_u32_e32 vcc_lo, 0, v6
	v_lshrrev_b32_e32 v7, 16, v7
	v_and_or_b32 v4, 0xffe, v8, v4
	v_cndmask_b32_e64 v6, 0, 1, vcc_lo
	v_sub_nc_u32_e32 v8, 0x3f1, v11
	v_add_nc_u32_e32 v11, 0xfffffc10, v11
	v_and_or_b32 v6, 0xffe, v10, v6
	v_med3_i32 v10, v14, 0, 13
	v_or_b32_e32 v14, 0x1000, v4
	v_med3_i32 v8, v8, 0, 13
	v_or_b32_e32 v15, 0x1000, v6
	v_lshrrev_b32_e32 v16, v10, v14
	v_lshrrev_b32_e32 v17, v8, v15
	v_lshlrev_b32_e32 v10, v10, v16
	v_lshlrev_b32_e32 v8, v8, v17
	v_cmp_ne_u32_e32 vcc_lo, v10, v14
	v_lshl_or_b32 v14, v9, 12, v4
	v_cndmask_b32_e64 v10, 0, 1, vcc_lo
	v_cmp_ne_u32_e32 vcc_lo, v8, v15
	v_lshl_or_b32 v15, v11, 12, v6
	v_or_b32_e32 v10, v16, v10
	v_cndmask_b32_e64 v8, 0, 1, vcc_lo
	v_cmp_gt_i32_e32 vcc_lo, 1, v9
	v_or_b32_e32 v8, v17, v8
	v_cndmask_b32_e32 v10, v14, v10, vcc_lo
	v_cmp_gt_i32_e32 vcc_lo, 1, v11
	v_and_b32_e32 v14, 7, v10
	v_cndmask_b32_e32 v8, v15, v8, vcc_lo
	v_cmp_ne_u32_e32 vcc_lo, 0, v4
	v_lshrrev_b32_e32 v10, 2, v10
	v_cmp_eq_u32_e64 s0, 3, v14
	v_and_b32_e32 v15, 7, v8
	v_cndmask_b32_e64 v4, 0, 1, vcc_lo
	v_cmp_ne_u32_e32 vcc_lo, 0, v6
	v_lshrrev_b32_e32 v8, 2, v8
	v_cmp_lt_i32_e64 s1, 5, v15
	v_cmp_eq_u32_e64 s2, 3, v15
	v_cndmask_b32_e64 v6, 0, 1, vcc_lo
	v_cmp_lt_i32_e32 vcc_lo, 5, v14
	v_lshl_or_b32 v4, v4, 9, 0x7c00
	v_lshl_or_b32 v6, v6, 9, 0x7c00
	s_or_b32 vcc_lo, s0, vcc_lo
	v_add_co_ci_u32_e32 v10, vcc_lo, 0, v10, vcc_lo
	s_or_b32 vcc_lo, s2, s1
	v_add_co_ci_u32_e32 v8, vcc_lo, 0, v8, vcc_lo
	v_cmp_gt_i32_e32 vcc_lo, 31, v9
	v_cndmask_b32_e32 v10, 0x7c00, v10, vcc_lo
	v_cmp_gt_i32_e32 vcc_lo, 31, v11
	v_cndmask_b32_e32 v8, 0x7c00, v8, vcc_lo
	v_cmp_eq_u32_e32 vcc_lo, 0x40f, v9
	v_cndmask_b32_e32 v4, v10, v4, vcc_lo
	v_cmp_eq_u32_e32 vcc_lo, 0x40f, v11
	v_and_or_b32 v4, 0x8000, v5, v4
	v_cndmask_b32_e32 v6, v8, v6, vcc_lo
	v_add_co_u32 v0, vcc_lo, v0, s6
	v_add_co_ci_u32_e32 v1, vcc_lo, s7, v1, vcc_lo
	v_and_or_b32 v5, 0x8000, v7, v6
	v_and_b32_e32 v4, 0xffff, v4
	v_lshl_or_b32 v4, v5, 16, v4
	global_store_dword v[0:1], v4, off
	global_load_dword v6, v[12:13], off offset:388
	ds_read2_b32 v[4:5], v57 offset0:97 offset1:118
	s_waitcnt lgkmcnt(0)
	v_lshrrev_b32_e32 v7, 16, v4
	s_waitcnt vmcnt(0)
	v_mul_f16_sdwa v8, v7, v6 dst_sel:DWORD dst_unused:UNUSED_PAD src0_sel:DWORD src1_sel:WORD_1
	v_mul_f16_sdwa v9, v4, v6 dst_sel:DWORD dst_unused:UNUSED_PAD src0_sel:DWORD src1_sel:WORD_1
	v_fmac_f16_e32 v8, v4, v6
	v_fma_f16 v4, v6, v7, -v9
	v_cvt_f32_f16_e32 v6, v8
	v_cvt_f32_f16_e32 v4, v4
	v_cvt_f64_f32_e32 v[6:7], v6
	v_cvt_f64_f32_e32 v[8:9], v4
	v_mul_f64 v[6:7], v[6:7], s[4:5]
	v_mul_f64 v[8:9], v[8:9], s[4:5]
	v_and_or_b32 v4, 0x1ff, v7, v6
	v_and_or_b32 v8, 0x1ff, v9, v8
	v_lshrrev_b32_e32 v6, 8, v7
	v_bfe_u32 v10, v7, 20, 11
	v_lshrrev_b32_e32 v11, 8, v9
	v_cmp_ne_u32_e32 vcc_lo, 0, v4
	v_bfe_u32 v14, v9, 20, 11
	v_lshrrev_b32_e32 v7, 16, v7
	v_sub_nc_u32_e32 v15, 0x3f1, v10
	v_add_nc_u32_e32 v10, 0xfffffc10, v10
	v_cndmask_b32_e64 v4, 0, 1, vcc_lo
	v_cmp_ne_u32_e32 vcc_lo, 0, v8
	v_lshrrev_b32_e32 v9, 16, v9
	v_and_or_b32 v4, 0xffe, v6, v4
	v_cndmask_b32_e64 v8, 0, 1, vcc_lo
	v_sub_nc_u32_e32 v6, 0x3f1, v14
	v_add_nc_u32_e32 v14, 0xfffffc10, v14
	v_and_or_b32 v8, 0xffe, v11, v8
	v_med3_i32 v11, v15, 0, 13
	v_or_b32_e32 v15, 0x1000, v4
	v_med3_i32 v6, v6, 0, 13
	v_or_b32_e32 v16, 0x1000, v8
	v_lshrrev_b32_e32 v17, v11, v15
	v_lshrrev_b32_e32 v18, v6, v16
	v_lshlrev_b32_e32 v11, v11, v17
	v_lshlrev_b32_e32 v6, v6, v18
	v_cmp_ne_u32_e32 vcc_lo, v11, v15
	v_lshl_or_b32 v15, v10, 12, v4
	v_cndmask_b32_e64 v11, 0, 1, vcc_lo
	v_cmp_ne_u32_e32 vcc_lo, v6, v16
	v_lshl_or_b32 v16, v14, 12, v8
	v_or_b32_e32 v11, v17, v11
	v_cndmask_b32_e64 v6, 0, 1, vcc_lo
	v_cmp_gt_i32_e32 vcc_lo, 1, v10
	v_or_b32_e32 v6, v18, v6
	v_cndmask_b32_e32 v11, v15, v11, vcc_lo
	v_cmp_gt_i32_e32 vcc_lo, 1, v14
	v_and_b32_e32 v15, 7, v11
	v_cndmask_b32_e32 v6, v16, v6, vcc_lo
	v_cmp_ne_u32_e32 vcc_lo, 0, v4
	v_lshrrev_b32_e32 v11, 2, v11
	v_cmp_eq_u32_e64 s0, 3, v15
	v_and_b32_e32 v16, 7, v6
	v_cndmask_b32_e64 v4, 0, 1, vcc_lo
	v_cmp_ne_u32_e32 vcc_lo, 0, v8
	v_lshrrev_b32_e32 v6, 2, v6
	v_cmp_lt_i32_e64 s1, 5, v16
	v_cmp_eq_u32_e64 s2, 3, v16
	v_cndmask_b32_e64 v8, 0, 1, vcc_lo
	v_cmp_lt_i32_e32 vcc_lo, 5, v15
	v_lshl_or_b32 v4, v4, 9, 0x7c00
	v_lshl_or_b32 v8, v8, 9, 0x7c00
	s_or_b32 vcc_lo, s0, vcc_lo
	v_add_co_ci_u32_e32 v11, vcc_lo, 0, v11, vcc_lo
	s_or_b32 vcc_lo, s2, s1
	v_add_co_ci_u32_e32 v6, vcc_lo, 0, v6, vcc_lo
	v_cmp_gt_i32_e32 vcc_lo, 31, v10
	v_cndmask_b32_e32 v11, 0x7c00, v11, vcc_lo
	v_cmp_gt_i32_e32 vcc_lo, 31, v14
	v_cndmask_b32_e32 v6, 0x7c00, v6, vcc_lo
	v_cmp_eq_u32_e32 vcc_lo, 0x40f, v10
	v_cndmask_b32_e32 v4, v11, v4, vcc_lo
	v_cmp_eq_u32_e32 vcc_lo, 0x40f, v14
	v_and_or_b32 v4, 0x8000, v7, v4
	v_cndmask_b32_e32 v6, v6, v8, vcc_lo
	v_add_co_u32 v0, vcc_lo, v0, s6
	v_add_co_ci_u32_e32 v1, vcc_lo, s7, v1, vcc_lo
	v_and_or_b32 v6, 0x8000, v9, v6
	v_and_b32_e32 v4, 0xffff, v4
	v_lshl_or_b32 v4, v6, 16, v4
	v_lshrrev_b32_e32 v6, 16, v5
	global_store_dword v[0:1], v4, off
	global_load_dword v4, v[12:13], off offset:472
	s_waitcnt vmcnt(0)
	v_mul_f16_sdwa v7, v6, v4 dst_sel:DWORD dst_unused:UNUSED_PAD src0_sel:DWORD src1_sel:WORD_1
	v_mul_f16_sdwa v8, v5, v4 dst_sel:DWORD dst_unused:UNUSED_PAD src0_sel:DWORD src1_sel:WORD_1
	v_fmac_f16_e32 v7, v5, v4
	v_fma_f16 v4, v4, v6, -v8
	v_cvt_f32_f16_e32 v5, v7
	v_cvt_f32_f16_e32 v6, v4
	v_cvt_f64_f32_e32 v[4:5], v5
	v_cvt_f64_f32_e32 v[6:7], v6
	v_mul_f64 v[4:5], v[4:5], s[4:5]
	v_mul_f64 v[6:7], v[6:7], s[4:5]
	v_and_or_b32 v4, 0x1ff, v5, v4
	v_and_or_b32 v6, 0x1ff, v7, v6
	v_lshrrev_b32_e32 v8, 8, v5
	v_bfe_u32 v9, v5, 20, 11
	v_lshrrev_b32_e32 v10, 8, v7
	v_cmp_ne_u32_e32 vcc_lo, 0, v4
	v_bfe_u32 v11, v7, 20, 11
	v_lshrrev_b32_e32 v5, 16, v5
	v_sub_nc_u32_e32 v14, 0x3f1, v9
	v_add_nc_u32_e32 v9, 0xfffffc10, v9
	v_cndmask_b32_e64 v4, 0, 1, vcc_lo
	v_cmp_ne_u32_e32 vcc_lo, 0, v6
	v_lshrrev_b32_e32 v7, 16, v7
	v_and_or_b32 v4, 0xffe, v8, v4
	v_cndmask_b32_e64 v6, 0, 1, vcc_lo
	v_sub_nc_u32_e32 v8, 0x3f1, v11
	v_add_nc_u32_e32 v11, 0xfffffc10, v11
	v_and_or_b32 v6, 0xffe, v10, v6
	v_med3_i32 v10, v14, 0, 13
	v_or_b32_e32 v14, 0x1000, v4
	v_med3_i32 v8, v8, 0, 13
	v_or_b32_e32 v15, 0x1000, v6
	v_lshrrev_b32_e32 v16, v10, v14
	v_lshrrev_b32_e32 v17, v8, v15
	v_lshlrev_b32_e32 v10, v10, v16
	v_lshlrev_b32_e32 v8, v8, v17
	v_cmp_ne_u32_e32 vcc_lo, v10, v14
	v_lshl_or_b32 v14, v9, 12, v4
	v_cndmask_b32_e64 v10, 0, 1, vcc_lo
	v_cmp_ne_u32_e32 vcc_lo, v8, v15
	v_lshl_or_b32 v15, v11, 12, v6
	v_or_b32_e32 v10, v16, v10
	v_cndmask_b32_e64 v8, 0, 1, vcc_lo
	v_cmp_gt_i32_e32 vcc_lo, 1, v9
	v_or_b32_e32 v8, v17, v8
	v_cndmask_b32_e32 v10, v14, v10, vcc_lo
	v_cmp_gt_i32_e32 vcc_lo, 1, v11
	v_and_b32_e32 v14, 7, v10
	v_cndmask_b32_e32 v8, v15, v8, vcc_lo
	v_cmp_ne_u32_e32 vcc_lo, 0, v4
	v_lshrrev_b32_e32 v10, 2, v10
	v_cmp_eq_u32_e64 s0, 3, v14
	v_and_b32_e32 v15, 7, v8
	v_cndmask_b32_e64 v4, 0, 1, vcc_lo
	v_cmp_ne_u32_e32 vcc_lo, 0, v6
	v_lshrrev_b32_e32 v8, 2, v8
	v_cmp_lt_i32_e64 s1, 5, v15
	v_cmp_eq_u32_e64 s2, 3, v15
	v_cndmask_b32_e64 v6, 0, 1, vcc_lo
	v_cmp_lt_i32_e32 vcc_lo, 5, v14
	v_lshl_or_b32 v4, v4, 9, 0x7c00
	v_lshl_or_b32 v6, v6, 9, 0x7c00
	s_or_b32 vcc_lo, s0, vcc_lo
	v_add_co_ci_u32_e32 v10, vcc_lo, 0, v10, vcc_lo
	s_or_b32 vcc_lo, s2, s1
	v_add_co_ci_u32_e32 v8, vcc_lo, 0, v8, vcc_lo
	v_cmp_gt_i32_e32 vcc_lo, 31, v9
	v_cndmask_b32_e32 v10, 0x7c00, v10, vcc_lo
	v_cmp_gt_i32_e32 vcc_lo, 31, v11
	v_cndmask_b32_e32 v8, 0x7c00, v8, vcc_lo
	v_cmp_eq_u32_e32 vcc_lo, 0x40f, v9
	v_cndmask_b32_e32 v4, v10, v4, vcc_lo
	v_cmp_eq_u32_e32 vcc_lo, 0x40f, v11
	v_and_or_b32 v4, 0x8000, v5, v4
	v_cndmask_b32_e32 v6, v8, v6, vcc_lo
	v_add_co_u32 v0, vcc_lo, v0, s6
	v_add_co_ci_u32_e32 v1, vcc_lo, s7, v1, vcc_lo
	v_and_or_b32 v5, 0x8000, v7, v6
	v_and_b32_e32 v4, 0xffff, v4
	v_lshl_or_b32 v4, v5, 16, v4
	global_store_dword v[0:1], v4, off
	global_load_dword v6, v[12:13], off offset:556
	ds_read2_b32 v[4:5], v57 offset0:139 offset1:160
	s_waitcnt lgkmcnt(0)
	v_lshrrev_b32_e32 v7, 16, v4
	s_waitcnt vmcnt(0)
	v_mul_f16_sdwa v8, v7, v6 dst_sel:DWORD dst_unused:UNUSED_PAD src0_sel:DWORD src1_sel:WORD_1
	v_mul_f16_sdwa v9, v4, v6 dst_sel:DWORD dst_unused:UNUSED_PAD src0_sel:DWORD src1_sel:WORD_1
	v_fmac_f16_e32 v8, v4, v6
	v_fma_f16 v4, v6, v7, -v9
	v_cvt_f32_f16_e32 v6, v8
	v_cvt_f32_f16_e32 v4, v4
	v_cvt_f64_f32_e32 v[6:7], v6
	v_cvt_f64_f32_e32 v[8:9], v4
	v_mul_f64 v[6:7], v[6:7], s[4:5]
	v_mul_f64 v[8:9], v[8:9], s[4:5]
	v_and_or_b32 v4, 0x1ff, v7, v6
	v_and_or_b32 v8, 0x1ff, v9, v8
	v_lshrrev_b32_e32 v6, 8, v7
	v_bfe_u32 v10, v7, 20, 11
	v_lshrrev_b32_e32 v11, 8, v9
	v_cmp_ne_u32_e32 vcc_lo, 0, v4
	v_bfe_u32 v14, v9, 20, 11
	v_lshrrev_b32_e32 v7, 16, v7
	v_sub_nc_u32_e32 v15, 0x3f1, v10
	v_add_nc_u32_e32 v10, 0xfffffc10, v10
	v_cndmask_b32_e64 v4, 0, 1, vcc_lo
	v_cmp_ne_u32_e32 vcc_lo, 0, v8
	v_lshrrev_b32_e32 v9, 16, v9
	v_and_or_b32 v4, 0xffe, v6, v4
	v_cndmask_b32_e64 v8, 0, 1, vcc_lo
	v_sub_nc_u32_e32 v6, 0x3f1, v14
	v_add_nc_u32_e32 v14, 0xfffffc10, v14
	v_and_or_b32 v8, 0xffe, v11, v8
	v_med3_i32 v11, v15, 0, 13
	v_or_b32_e32 v15, 0x1000, v4
	v_med3_i32 v6, v6, 0, 13
	v_or_b32_e32 v16, 0x1000, v8
	v_lshrrev_b32_e32 v17, v11, v15
	v_lshrrev_b32_e32 v18, v6, v16
	v_lshlrev_b32_e32 v11, v11, v17
	v_lshlrev_b32_e32 v6, v6, v18
	v_cmp_ne_u32_e32 vcc_lo, v11, v15
	v_lshl_or_b32 v15, v10, 12, v4
	v_cndmask_b32_e64 v11, 0, 1, vcc_lo
	v_cmp_ne_u32_e32 vcc_lo, v6, v16
	v_lshl_or_b32 v16, v14, 12, v8
	v_or_b32_e32 v11, v17, v11
	v_cndmask_b32_e64 v6, 0, 1, vcc_lo
	v_cmp_gt_i32_e32 vcc_lo, 1, v10
	v_or_b32_e32 v6, v18, v6
	v_cndmask_b32_e32 v11, v15, v11, vcc_lo
	v_cmp_gt_i32_e32 vcc_lo, 1, v14
	v_and_b32_e32 v15, 7, v11
	v_cndmask_b32_e32 v6, v16, v6, vcc_lo
	v_cmp_ne_u32_e32 vcc_lo, 0, v4
	v_lshrrev_b32_e32 v11, 2, v11
	v_cmp_eq_u32_e64 s0, 3, v15
	v_and_b32_e32 v16, 7, v6
	v_cndmask_b32_e64 v4, 0, 1, vcc_lo
	v_cmp_ne_u32_e32 vcc_lo, 0, v8
	v_lshrrev_b32_e32 v6, 2, v6
	v_cmp_lt_i32_e64 s1, 5, v16
	v_cmp_eq_u32_e64 s2, 3, v16
	v_cndmask_b32_e64 v8, 0, 1, vcc_lo
	v_cmp_lt_i32_e32 vcc_lo, 5, v15
	v_lshl_or_b32 v4, v4, 9, 0x7c00
	v_lshl_or_b32 v8, v8, 9, 0x7c00
	s_or_b32 vcc_lo, s0, vcc_lo
	v_add_co_ci_u32_e32 v11, vcc_lo, 0, v11, vcc_lo
	s_or_b32 vcc_lo, s2, s1
	v_add_co_ci_u32_e32 v6, vcc_lo, 0, v6, vcc_lo
	v_cmp_gt_i32_e32 vcc_lo, 31, v10
	v_cndmask_b32_e32 v11, 0x7c00, v11, vcc_lo
	v_cmp_gt_i32_e32 vcc_lo, 31, v14
	v_cndmask_b32_e32 v6, 0x7c00, v6, vcc_lo
	v_cmp_eq_u32_e32 vcc_lo, 0x40f, v10
	v_cndmask_b32_e32 v4, v11, v4, vcc_lo
	v_cmp_eq_u32_e32 vcc_lo, 0x40f, v14
	v_and_or_b32 v4, 0x8000, v7, v4
	v_cndmask_b32_e32 v6, v6, v8, vcc_lo
	v_add_co_u32 v0, vcc_lo, v0, s6
	v_add_co_ci_u32_e32 v1, vcc_lo, s7, v1, vcc_lo
	v_and_or_b32 v6, 0x8000, v9, v6
	v_and_b32_e32 v4, 0xffff, v4
	v_lshl_or_b32 v4, v6, 16, v4
	v_lshrrev_b32_e32 v6, 16, v5
	global_store_dword v[0:1], v4, off
	global_load_dword v4, v[12:13], off offset:640
	v_mad_u64_u32 v[0:1], null, 0xa8, s8, v[0:1]
	s_waitcnt vmcnt(0)
	v_mul_f16_sdwa v7, v6, v4 dst_sel:DWORD dst_unused:UNUSED_PAD src0_sel:DWORD src1_sel:WORD_1
	v_mul_f16_sdwa v8, v5, v4 dst_sel:DWORD dst_unused:UNUSED_PAD src0_sel:DWORD src1_sel:WORD_1
	v_fmac_f16_e32 v7, v5, v4
	v_fma_f16 v4, v4, v6, -v8
	v_cvt_f32_f16_e32 v5, v7
	v_cvt_f32_f16_e32 v6, v4
	v_cvt_f64_f32_e32 v[4:5], v5
	v_cvt_f64_f32_e32 v[6:7], v6
	v_mul_f64 v[4:5], v[4:5], s[4:5]
	v_mul_f64 v[6:7], v[6:7], s[4:5]
	v_and_or_b32 v4, 0x1ff, v5, v4
	v_and_or_b32 v6, 0x1ff, v7, v6
	v_lshrrev_b32_e32 v8, 8, v5
	v_bfe_u32 v10, v5, 20, 11
	v_bfe_u32 v11, v7, 20, 11
	v_cmp_ne_u32_e32 vcc_lo, 0, v4
	v_lshrrev_b32_e32 v9, 8, v7
	v_lshrrev_b32_e32 v7, 16, v7
	v_sub_nc_u32_e32 v14, 0x3f1, v10
	v_sub_nc_u32_e32 v15, 0x3f1, v11
	v_cndmask_b32_e64 v4, 0, 1, vcc_lo
	v_cmp_ne_u32_e32 vcc_lo, 0, v6
	v_add_nc_u32_e32 v11, 0xfffffc10, v11
	v_and_or_b32 v16, 0xffe, v8, v4
	v_cndmask_b32_e64 v6, 0, 1, vcc_lo
	v_med3_i32 v4, v14, 0, 13
	v_med3_i32 v14, v15, 0, 13
	v_or_b32_e32 v15, 0x1000, v16
	v_and_or_b32 v6, 0xffe, v9, v6
	v_mad_u64_u32 v[8:9], null, s8, v58, 0
	v_lshrrev_b32_e32 v18, v4, v15
	v_or_b32_e32 v17, 0x1000, v6
	v_lshlrev_b32_e32 v20, v4, v18
	v_lshrrev_b32_e32 v19, v14, v17
	v_mov_b32_e32 v4, v9
	v_cmp_ne_u32_e32 vcc_lo, v20, v15
	v_lshlrev_b32_e32 v9, v14, v19
	v_add_nc_u32_e32 v14, 0xfffffc10, v10
	v_cndmask_b32_e64 v15, 0, 1, vcc_lo
	v_cmp_ne_u32_e32 vcc_lo, v9, v17
	v_mad_u64_u32 v[9:10], null, s9, v58, v[4:5]
	v_lshl_or_b32 v4, v14, 12, v16
	v_or_b32_e32 v10, v18, v15
	v_cndmask_b32_e64 v17, 0, 1, vcc_lo
	v_cmp_gt_i32_e32 vcc_lo, 1, v14
	v_lshl_or_b32 v15, v11, 12, v6
	v_lshrrev_b32_e32 v5, 16, v5
	v_or_b32_e32 v17, v19, v17
	v_cndmask_b32_e32 v4, v4, v10, vcc_lo
	v_cmp_gt_i32_e32 vcc_lo, 1, v11
	v_cndmask_b32_e32 v10, v15, v17, vcc_lo
	v_cmp_ne_u32_e32 vcc_lo, 0, v16
	v_and_b32_e32 v16, 7, v4
	v_lshrrev_b32_e32 v4, 2, v4
	v_and_b32_e32 v17, 7, v10
	v_cndmask_b32_e64 v15, 0, 1, vcc_lo
	v_cmp_ne_u32_e32 vcc_lo, 0, v6
	v_cmp_eq_u32_e64 s0, 3, v16
	v_lshrrev_b32_e32 v10, 2, v10
	v_cmp_lt_i32_e64 s1, 5, v17
	v_cmp_eq_u32_e64 s2, 3, v17
	v_cndmask_b32_e64 v6, 0, 1, vcc_lo
	v_cmp_lt_i32_e32 vcc_lo, 5, v16
	v_lshl_or_b32 v15, v15, 9, 0x7c00
	v_lshl_or_b32 v6, v6, 9, 0x7c00
	s_or_b32 vcc_lo, s0, vcc_lo
	v_add_co_ci_u32_e32 v4, vcc_lo, 0, v4, vcc_lo
	s_or_b32 vcc_lo, s2, s1
	v_add_co_ci_u32_e32 v10, vcc_lo, 0, v10, vcc_lo
	v_cmp_gt_i32_e32 vcc_lo, 31, v14
	v_cndmask_b32_e32 v4, 0x7c00, v4, vcc_lo
	v_cmp_gt_i32_e32 vcc_lo, 31, v11
	v_cndmask_b32_e32 v10, 0x7c00, v10, vcc_lo
	v_cmp_eq_u32_e32 vcc_lo, 0x40f, v14
	v_cndmask_b32_e32 v4, v4, v15, vcc_lo
	v_cmp_eq_u32_e32 vcc_lo, 0x40f, v11
	v_cndmask_b32_e32 v6, v10, v6, vcc_lo
	v_and_or_b32 v10, 0x8000, v5, v4
	v_lshlrev_b64 v[4:5], 2, v[8:9]
	v_and_or_b32 v6, 0x8000, v7, v6
	v_and_b32_e32 v7, 0xffff, v10
	v_add_co_u32 v2, vcc_lo, v2, v4
	v_add_co_ci_u32_e32 v3, vcc_lo, v3, v5, vcc_lo
	v_lshl_or_b32 v4, v6, 16, v7
	global_store_dword v[2:3], v4, off
	global_load_dword v4, v[12:13], off offset:724
	ds_read2_b32 v[2:3], v57 offset0:181 offset1:202
	s_waitcnt lgkmcnt(0)
	v_lshrrev_b32_e32 v5, 16, v2
	s_waitcnt vmcnt(0)
	v_mul_f16_sdwa v6, v5, v4 dst_sel:DWORD dst_unused:UNUSED_PAD src0_sel:DWORD src1_sel:WORD_1
	v_mul_f16_sdwa v7, v2, v4 dst_sel:DWORD dst_unused:UNUSED_PAD src0_sel:DWORD src1_sel:WORD_1
	v_fmac_f16_e32 v6, v2, v4
	v_fma_f16 v2, v4, v5, -v7
	v_cvt_f32_f16_e32 v4, v6
	v_cvt_f32_f16_e32 v2, v2
	v_cvt_f64_f32_e32 v[4:5], v4
	v_cvt_f64_f32_e32 v[6:7], v2
	v_mul_f64 v[4:5], v[4:5], s[4:5]
	v_mul_f64 v[6:7], v[6:7], s[4:5]
	v_and_or_b32 v2, 0x1ff, v5, v4
	v_and_or_b32 v6, 0x1ff, v7, v6
	v_lshrrev_b32_e32 v4, 8, v5
	v_bfe_u32 v8, v5, 20, 11
	v_lshrrev_b32_e32 v9, 8, v7
	v_cmp_ne_u32_e32 vcc_lo, 0, v2
	v_bfe_u32 v10, v7, 20, 11
	v_lshrrev_b32_e32 v5, 16, v5
	v_sub_nc_u32_e32 v11, 0x3f1, v8
	v_add_nc_u32_e32 v8, 0xfffffc10, v8
	v_cndmask_b32_e64 v2, 0, 1, vcc_lo
	v_cmp_ne_u32_e32 vcc_lo, 0, v6
	v_lshrrev_b32_e32 v7, 16, v7
	v_and_or_b32 v2, 0xffe, v4, v2
	v_cndmask_b32_e64 v6, 0, 1, vcc_lo
	v_sub_nc_u32_e32 v4, 0x3f1, v10
	v_add_nc_u32_e32 v10, 0xfffffc10, v10
	v_and_or_b32 v6, 0xffe, v9, v6
	v_med3_i32 v9, v11, 0, 13
	v_or_b32_e32 v11, 0x1000, v2
	v_med3_i32 v4, v4, 0, 13
	v_or_b32_e32 v14, 0x1000, v6
	v_lshrrev_b32_e32 v15, v9, v11
	v_lshrrev_b32_e32 v16, v4, v14
	v_lshlrev_b32_e32 v9, v9, v15
	v_lshlrev_b32_e32 v4, v4, v16
	v_cmp_ne_u32_e32 vcc_lo, v9, v11
	v_lshl_or_b32 v11, v8, 12, v2
	v_cndmask_b32_e64 v9, 0, 1, vcc_lo
	v_cmp_ne_u32_e32 vcc_lo, v4, v14
	v_lshl_or_b32 v14, v10, 12, v6
	v_or_b32_e32 v9, v15, v9
	v_cndmask_b32_e64 v4, 0, 1, vcc_lo
	v_cmp_gt_i32_e32 vcc_lo, 1, v8
	v_or_b32_e32 v4, v16, v4
	v_cndmask_b32_e32 v9, v11, v9, vcc_lo
	v_cmp_gt_i32_e32 vcc_lo, 1, v10
	v_and_b32_e32 v11, 7, v9
	v_cndmask_b32_e32 v4, v14, v4, vcc_lo
	v_cmp_ne_u32_e32 vcc_lo, 0, v2
	v_lshrrev_b32_e32 v9, 2, v9
	v_cmp_eq_u32_e64 s0, 3, v11
	v_and_b32_e32 v14, 7, v4
	v_cndmask_b32_e64 v2, 0, 1, vcc_lo
	v_cmp_ne_u32_e32 vcc_lo, 0, v6
	v_lshrrev_b32_e32 v4, 2, v4
	v_cmp_lt_i32_e64 s1, 5, v14
	v_cmp_eq_u32_e64 s2, 3, v14
	v_cndmask_b32_e64 v6, 0, 1, vcc_lo
	v_cmp_lt_i32_e32 vcc_lo, 5, v11
	v_lshl_or_b32 v2, v2, 9, 0x7c00
	v_lshl_or_b32 v6, v6, 9, 0x7c00
	s_or_b32 vcc_lo, s0, vcc_lo
	v_add_co_ci_u32_e32 v9, vcc_lo, 0, v9, vcc_lo
	s_or_b32 vcc_lo, s2, s1
	v_add_co_ci_u32_e32 v4, vcc_lo, 0, v4, vcc_lo
	v_cmp_gt_i32_e32 vcc_lo, 31, v8
	v_cndmask_b32_e32 v9, 0x7c00, v9, vcc_lo
	v_cmp_gt_i32_e32 vcc_lo, 31, v10
	v_cndmask_b32_e32 v4, 0x7c00, v4, vcc_lo
	v_cmp_eq_u32_e32 vcc_lo, 0x40f, v8
	v_cndmask_b32_e32 v2, v9, v2, vcc_lo
	v_cmp_eq_u32_e32 vcc_lo, 0x40f, v10
	v_and_or_b32 v5, 0x8000, v5, v2
	v_cndmask_b32_e32 v4, v4, v6, vcc_lo
	v_mad_u64_u32 v[1:2], null, 0xa8, s9, v[1:2]
	v_and_or_b32 v2, 0x8000, v7, v4
	v_and_b32_e32 v4, 0xffff, v5
	v_lshl_or_b32 v2, v2, 16, v4
	v_lshrrev_b32_e32 v4, 16, v3
	global_store_dword v[0:1], v2, off
	global_load_dword v2, v[12:13], off offset:808
	s_waitcnt vmcnt(0)
	v_mul_f16_sdwa v5, v4, v2 dst_sel:DWORD dst_unused:UNUSED_PAD src0_sel:DWORD src1_sel:WORD_1
	v_mul_f16_sdwa v6, v3, v2 dst_sel:DWORD dst_unused:UNUSED_PAD src0_sel:DWORD src1_sel:WORD_1
	v_fmac_f16_e32 v5, v3, v2
	v_fma_f16 v2, v2, v4, -v6
	v_cvt_f32_f16_e32 v3, v5
	v_cvt_f32_f16_e32 v4, v2
	v_cvt_f64_f32_e32 v[2:3], v3
	v_cvt_f64_f32_e32 v[4:5], v4
	v_mul_f64 v[2:3], v[2:3], s[4:5]
	v_mul_f64 v[4:5], v[4:5], s[4:5]
	v_and_or_b32 v2, 0x1ff, v3, v2
	v_and_or_b32 v4, 0x1ff, v5, v4
	v_lshrrev_b32_e32 v6, 8, v3
	v_bfe_u32 v7, v3, 20, 11
	v_lshrrev_b32_e32 v8, 8, v5
	v_cmp_ne_u32_e32 vcc_lo, 0, v2
	v_bfe_u32 v9, v5, 20, 11
	v_lshrrev_b32_e32 v3, 16, v3
	v_sub_nc_u32_e32 v10, 0x3f1, v7
	v_add_nc_u32_e32 v7, 0xfffffc10, v7
	v_cndmask_b32_e64 v2, 0, 1, vcc_lo
	v_cmp_ne_u32_e32 vcc_lo, 0, v4
	v_lshrrev_b32_e32 v5, 16, v5
	v_and_or_b32 v2, 0xffe, v6, v2
	v_cndmask_b32_e64 v4, 0, 1, vcc_lo
	v_sub_nc_u32_e32 v6, 0x3f1, v9
	v_add_nc_u32_e32 v9, 0xfffffc10, v9
	v_and_or_b32 v4, 0xffe, v8, v4
	v_med3_i32 v8, v10, 0, 13
	v_or_b32_e32 v10, 0x1000, v2
	v_med3_i32 v6, v6, 0, 13
	v_or_b32_e32 v11, 0x1000, v4
	v_lshrrev_b32_e32 v14, v8, v10
	v_lshrrev_b32_e32 v15, v6, v11
	v_lshlrev_b32_e32 v8, v8, v14
	v_lshlrev_b32_e32 v6, v6, v15
	v_cmp_ne_u32_e32 vcc_lo, v8, v10
	v_lshl_or_b32 v10, v7, 12, v2
	v_cndmask_b32_e64 v8, 0, 1, vcc_lo
	v_cmp_ne_u32_e32 vcc_lo, v6, v11
	v_lshl_or_b32 v11, v9, 12, v4
	v_or_b32_e32 v8, v14, v8
	v_cndmask_b32_e64 v6, 0, 1, vcc_lo
	v_cmp_gt_i32_e32 vcc_lo, 1, v7
	v_or_b32_e32 v6, v15, v6
	v_cndmask_b32_e32 v8, v10, v8, vcc_lo
	v_cmp_gt_i32_e32 vcc_lo, 1, v9
	v_and_b32_e32 v10, 7, v8
	v_cndmask_b32_e32 v6, v11, v6, vcc_lo
	v_cmp_ne_u32_e32 vcc_lo, 0, v2
	v_lshrrev_b32_e32 v8, 2, v8
	v_cmp_eq_u32_e64 s0, 3, v10
	v_and_b32_e32 v11, 7, v6
	v_cndmask_b32_e64 v2, 0, 1, vcc_lo
	v_cmp_ne_u32_e32 vcc_lo, 0, v4
	v_lshrrev_b32_e32 v6, 2, v6
	v_cmp_lt_i32_e64 s1, 5, v11
	v_cmp_eq_u32_e64 s2, 3, v11
	v_cndmask_b32_e64 v4, 0, 1, vcc_lo
	v_cmp_lt_i32_e32 vcc_lo, 5, v10
	v_lshl_or_b32 v2, v2, 9, 0x7c00
	v_lshl_or_b32 v4, v4, 9, 0x7c00
	s_or_b32 vcc_lo, s0, vcc_lo
	v_add_co_ci_u32_e32 v8, vcc_lo, 0, v8, vcc_lo
	s_or_b32 vcc_lo, s2, s1
	v_add_co_ci_u32_e32 v6, vcc_lo, 0, v6, vcc_lo
	v_cmp_gt_i32_e32 vcc_lo, 31, v7
	v_cndmask_b32_e32 v8, 0x7c00, v8, vcc_lo
	v_cmp_gt_i32_e32 vcc_lo, 31, v9
	v_cndmask_b32_e32 v6, 0x7c00, v6, vcc_lo
	v_cmp_eq_u32_e32 vcc_lo, 0x40f, v7
	v_cndmask_b32_e32 v2, v8, v2, vcc_lo
	v_cmp_eq_u32_e32 vcc_lo, 0x40f, v9
	v_and_or_b32 v2, 0x8000, v3, v2
	v_cndmask_b32_e32 v4, v6, v4, vcc_lo
	v_add_co_u32 v0, vcc_lo, v0, s6
	v_add_co_ci_u32_e32 v1, vcc_lo, s7, v1, vcc_lo
	v_and_or_b32 v3, 0x8000, v5, v4
	v_and_b32_e32 v2, 0xffff, v2
	v_lshl_or_b32 v2, v3, 16, v2
	global_store_dword v[0:1], v2, off
	global_load_dword v4, v[12:13], off offset:892
	ds_read2_b32 v[2:3], v57 offset0:223 offset1:244
	s_waitcnt lgkmcnt(0)
	v_lshrrev_b32_e32 v5, 16, v2
	s_waitcnt vmcnt(0)
	v_mul_f16_sdwa v6, v5, v4 dst_sel:DWORD dst_unused:UNUSED_PAD src0_sel:DWORD src1_sel:WORD_1
	v_mul_f16_sdwa v7, v2, v4 dst_sel:DWORD dst_unused:UNUSED_PAD src0_sel:DWORD src1_sel:WORD_1
	v_fmac_f16_e32 v6, v2, v4
	v_fma_f16 v2, v4, v5, -v7
	v_cvt_f32_f16_e32 v4, v6
	v_cvt_f32_f16_e32 v2, v2
	v_cvt_f64_f32_e32 v[4:5], v4
	v_cvt_f64_f32_e32 v[6:7], v2
	v_mul_f64 v[4:5], v[4:5], s[4:5]
	v_mul_f64 v[6:7], v[6:7], s[4:5]
	v_and_or_b32 v2, 0x1ff, v5, v4
	v_and_or_b32 v6, 0x1ff, v7, v6
	v_lshrrev_b32_e32 v4, 8, v5
	v_bfe_u32 v8, v5, 20, 11
	v_lshrrev_b32_e32 v9, 8, v7
	v_cmp_ne_u32_e32 vcc_lo, 0, v2
	v_bfe_u32 v10, v7, 20, 11
	v_lshrrev_b32_e32 v5, 16, v5
	v_sub_nc_u32_e32 v11, 0x3f1, v8
	v_add_nc_u32_e32 v8, 0xfffffc10, v8
	v_cndmask_b32_e64 v2, 0, 1, vcc_lo
	v_cmp_ne_u32_e32 vcc_lo, 0, v6
	v_lshrrev_b32_e32 v7, 16, v7
	v_and_or_b32 v2, 0xffe, v4, v2
	v_cndmask_b32_e64 v6, 0, 1, vcc_lo
	v_sub_nc_u32_e32 v4, 0x3f1, v10
	v_add_nc_u32_e32 v10, 0xfffffc10, v10
	v_and_or_b32 v6, 0xffe, v9, v6
	v_med3_i32 v9, v11, 0, 13
	v_or_b32_e32 v11, 0x1000, v2
	v_med3_i32 v4, v4, 0, 13
	v_or_b32_e32 v14, 0x1000, v6
	v_lshrrev_b32_e32 v15, v9, v11
	v_lshrrev_b32_e32 v16, v4, v14
	v_lshlrev_b32_e32 v9, v9, v15
	v_lshlrev_b32_e32 v4, v4, v16
	v_cmp_ne_u32_e32 vcc_lo, v9, v11
	v_lshl_or_b32 v11, v8, 12, v2
	v_cndmask_b32_e64 v9, 0, 1, vcc_lo
	v_cmp_ne_u32_e32 vcc_lo, v4, v14
	v_lshl_or_b32 v14, v10, 12, v6
	v_or_b32_e32 v9, v15, v9
	v_cndmask_b32_e64 v4, 0, 1, vcc_lo
	v_cmp_gt_i32_e32 vcc_lo, 1, v8
	v_or_b32_e32 v4, v16, v4
	v_cndmask_b32_e32 v9, v11, v9, vcc_lo
	v_cmp_gt_i32_e32 vcc_lo, 1, v10
	v_and_b32_e32 v11, 7, v9
	v_cndmask_b32_e32 v4, v14, v4, vcc_lo
	v_cmp_ne_u32_e32 vcc_lo, 0, v2
	v_lshrrev_b32_e32 v9, 2, v9
	v_cmp_eq_u32_e64 s0, 3, v11
	v_and_b32_e32 v14, 7, v4
	v_cndmask_b32_e64 v2, 0, 1, vcc_lo
	v_cmp_ne_u32_e32 vcc_lo, 0, v6
	v_lshrrev_b32_e32 v4, 2, v4
	v_cmp_lt_i32_e64 s1, 5, v14
	v_cmp_eq_u32_e64 s2, 3, v14
	v_cndmask_b32_e64 v6, 0, 1, vcc_lo
	v_cmp_lt_i32_e32 vcc_lo, 5, v11
	v_lshl_or_b32 v2, v2, 9, 0x7c00
	v_lshl_or_b32 v6, v6, 9, 0x7c00
	s_or_b32 vcc_lo, s0, vcc_lo
	v_add_co_ci_u32_e32 v9, vcc_lo, 0, v9, vcc_lo
	s_or_b32 vcc_lo, s2, s1
	v_add_co_ci_u32_e32 v4, vcc_lo, 0, v4, vcc_lo
	v_cmp_gt_i32_e32 vcc_lo, 31, v8
	v_cndmask_b32_e32 v9, 0x7c00, v9, vcc_lo
	v_cmp_gt_i32_e32 vcc_lo, 31, v10
	v_cndmask_b32_e32 v4, 0x7c00, v4, vcc_lo
	v_cmp_eq_u32_e32 vcc_lo, 0x40f, v8
	v_cndmask_b32_e32 v2, v9, v2, vcc_lo
	v_cmp_eq_u32_e32 vcc_lo, 0x40f, v10
	v_and_or_b32 v2, 0x8000, v5, v2
	v_cndmask_b32_e32 v4, v4, v6, vcc_lo
	v_add_co_u32 v0, vcc_lo, v0, s6
	v_add_co_ci_u32_e32 v1, vcc_lo, s7, v1, vcc_lo
	v_and_or_b32 v4, 0x8000, v7, v4
	v_and_b32_e32 v2, 0xffff, v2
	v_lshl_or_b32 v2, v4, 16, v2
	v_lshrrev_b32_e32 v4, 16, v3
	global_store_dword v[0:1], v2, off
	global_load_dword v2, v[12:13], off offset:976
	s_waitcnt vmcnt(0)
	v_mul_f16_sdwa v5, v4, v2 dst_sel:DWORD dst_unused:UNUSED_PAD src0_sel:DWORD src1_sel:WORD_1
	v_mul_f16_sdwa v6, v3, v2 dst_sel:DWORD dst_unused:UNUSED_PAD src0_sel:DWORD src1_sel:WORD_1
	v_fmac_f16_e32 v5, v3, v2
	v_fma_f16 v2, v2, v4, -v6
	v_cvt_f32_f16_e32 v3, v5
	v_cvt_f32_f16_e32 v4, v2
	v_cvt_f64_f32_e32 v[2:3], v3
	v_cvt_f64_f32_e32 v[4:5], v4
	v_mul_f64 v[2:3], v[2:3], s[4:5]
	v_mul_f64 v[4:5], v[4:5], s[4:5]
	v_and_or_b32 v2, 0x1ff, v3, v2
	v_and_or_b32 v4, 0x1ff, v5, v4
	v_lshrrev_b32_e32 v6, 8, v3
	v_bfe_u32 v7, v3, 20, 11
	v_lshrrev_b32_e32 v8, 8, v5
	v_cmp_ne_u32_e32 vcc_lo, 0, v2
	v_bfe_u32 v9, v5, 20, 11
	v_lshrrev_b32_e32 v3, 16, v3
	v_sub_nc_u32_e32 v10, 0x3f1, v7
	v_add_nc_u32_e32 v7, 0xfffffc10, v7
	v_cndmask_b32_e64 v2, 0, 1, vcc_lo
	v_cmp_ne_u32_e32 vcc_lo, 0, v4
	v_lshrrev_b32_e32 v5, 16, v5
	v_and_or_b32 v2, 0xffe, v6, v2
	v_cndmask_b32_e64 v4, 0, 1, vcc_lo
	v_sub_nc_u32_e32 v6, 0x3f1, v9
	v_add_nc_u32_e32 v9, 0xfffffc10, v9
	v_and_or_b32 v4, 0xffe, v8, v4
	v_med3_i32 v8, v10, 0, 13
	v_or_b32_e32 v10, 0x1000, v2
	v_med3_i32 v6, v6, 0, 13
	v_or_b32_e32 v11, 0x1000, v4
	v_lshrrev_b32_e32 v14, v8, v10
	v_lshrrev_b32_e32 v15, v6, v11
	v_lshlrev_b32_e32 v8, v8, v14
	v_lshlrev_b32_e32 v6, v6, v15
	v_cmp_ne_u32_e32 vcc_lo, v8, v10
	v_lshl_or_b32 v10, v7, 12, v2
	v_cndmask_b32_e64 v8, 0, 1, vcc_lo
	v_cmp_ne_u32_e32 vcc_lo, v6, v11
	v_lshl_or_b32 v11, v9, 12, v4
	v_or_b32_e32 v8, v14, v8
	v_cndmask_b32_e64 v6, 0, 1, vcc_lo
	v_cmp_gt_i32_e32 vcc_lo, 1, v7
	v_or_b32_e32 v6, v15, v6
	v_cndmask_b32_e32 v8, v10, v8, vcc_lo
	v_cmp_gt_i32_e32 vcc_lo, 1, v9
	v_and_b32_e32 v10, 7, v8
	v_cndmask_b32_e32 v6, v11, v6, vcc_lo
	v_cmp_ne_u32_e32 vcc_lo, 0, v2
	v_lshrrev_b32_e32 v8, 2, v8
	v_cmp_eq_u32_e64 s0, 3, v10
	v_and_b32_e32 v11, 7, v6
	v_cndmask_b32_e64 v2, 0, 1, vcc_lo
	v_cmp_ne_u32_e32 vcc_lo, 0, v4
	v_lshrrev_b32_e32 v6, 2, v6
	v_cmp_lt_i32_e64 s1, 5, v11
	v_cmp_eq_u32_e64 s2, 3, v11
	v_cndmask_b32_e64 v4, 0, 1, vcc_lo
	v_cmp_lt_i32_e32 vcc_lo, 5, v10
	v_lshl_or_b32 v2, v2, 9, 0x7c00
	v_lshl_or_b32 v4, v4, 9, 0x7c00
	s_or_b32 vcc_lo, s0, vcc_lo
	v_add_co_ci_u32_e32 v8, vcc_lo, 0, v8, vcc_lo
	s_or_b32 vcc_lo, s2, s1
	v_add_co_ci_u32_e32 v6, vcc_lo, 0, v6, vcc_lo
	v_cmp_gt_i32_e32 vcc_lo, 31, v7
	v_cndmask_b32_e32 v8, 0x7c00, v8, vcc_lo
	v_cmp_gt_i32_e32 vcc_lo, 31, v9
	v_cndmask_b32_e32 v6, 0x7c00, v6, vcc_lo
	v_cmp_eq_u32_e32 vcc_lo, 0x40f, v7
	v_cndmask_b32_e32 v2, v8, v2, vcc_lo
	v_cmp_eq_u32_e32 vcc_lo, 0x40f, v9
	v_and_or_b32 v2, 0x8000, v3, v2
	v_cndmask_b32_e32 v4, v6, v4, vcc_lo
	v_add_co_u32 v0, vcc_lo, v0, s6
	v_add_co_ci_u32_e32 v1, vcc_lo, s7, v1, vcc_lo
	v_and_or_b32 v3, 0x8000, v5, v4
	v_and_b32_e32 v2, 0xffff, v2
	v_lshl_or_b32 v2, v3, 16, v2
	ds_read_b32 v3, v57 offset:1060
	global_store_dword v[0:1], v2, off
	global_load_dword v2, v[12:13], off offset:1060
	s_waitcnt lgkmcnt(0)
	v_lshrrev_b32_e32 v4, 16, v3
	s_waitcnt vmcnt(0)
	v_mul_f16_sdwa v5, v4, v2 dst_sel:DWORD dst_unused:UNUSED_PAD src0_sel:DWORD src1_sel:WORD_1
	v_mul_f16_sdwa v6, v3, v2 dst_sel:DWORD dst_unused:UNUSED_PAD src0_sel:DWORD src1_sel:WORD_1
	v_fmac_f16_e32 v5, v3, v2
	v_fma_f16 v2, v2, v4, -v6
	v_cvt_f32_f16_e32 v3, v5
	v_cvt_f32_f16_e32 v4, v2
	v_cvt_f64_f32_e32 v[2:3], v3
	v_cvt_f64_f32_e32 v[4:5], v4
	v_mul_f64 v[2:3], v[2:3], s[4:5]
	v_mul_f64 v[4:5], v[4:5], s[4:5]
	v_and_or_b32 v2, 0x1ff, v3, v2
	v_and_or_b32 v4, 0x1ff, v5, v4
	v_lshrrev_b32_e32 v6, 8, v3
	v_bfe_u32 v7, v3, 20, 11
	v_lshrrev_b32_e32 v8, 8, v5
	v_cmp_ne_u32_e32 vcc_lo, 0, v2
	v_bfe_u32 v9, v5, 20, 11
	v_lshrrev_b32_e32 v3, 16, v3
	v_sub_nc_u32_e32 v10, 0x3f1, v7
	v_add_nc_u32_e32 v7, 0xfffffc10, v7
	v_cndmask_b32_e64 v2, 0, 1, vcc_lo
	v_cmp_ne_u32_e32 vcc_lo, 0, v4
	v_lshrrev_b32_e32 v5, 16, v5
	v_and_or_b32 v2, 0xffe, v6, v2
	v_cndmask_b32_e64 v4, 0, 1, vcc_lo
	v_sub_nc_u32_e32 v6, 0x3f1, v9
	v_add_nc_u32_e32 v9, 0xfffffc10, v9
	v_and_or_b32 v4, 0xffe, v8, v4
	v_med3_i32 v8, v10, 0, 13
	v_or_b32_e32 v10, 0x1000, v2
	v_med3_i32 v6, v6, 0, 13
	v_or_b32_e32 v11, 0x1000, v4
	v_lshrrev_b32_e32 v12, v8, v10
	v_lshrrev_b32_e32 v13, v6, v11
	v_lshlrev_b32_e32 v8, v8, v12
	v_lshlrev_b32_e32 v6, v6, v13
	v_cmp_ne_u32_e32 vcc_lo, v8, v10
	v_lshl_or_b32 v10, v7, 12, v2
	v_cndmask_b32_e64 v8, 0, 1, vcc_lo
	v_cmp_ne_u32_e32 vcc_lo, v6, v11
	v_lshl_or_b32 v11, v9, 12, v4
	v_or_b32_e32 v8, v12, v8
	v_cndmask_b32_e64 v6, 0, 1, vcc_lo
	v_cmp_gt_i32_e32 vcc_lo, 1, v7
	v_or_b32_e32 v6, v13, v6
	v_cndmask_b32_e32 v8, v10, v8, vcc_lo
	v_cmp_gt_i32_e32 vcc_lo, 1, v9
	v_and_b32_e32 v10, 7, v8
	v_cndmask_b32_e32 v6, v11, v6, vcc_lo
	v_cmp_ne_u32_e32 vcc_lo, 0, v2
	v_lshrrev_b32_e32 v8, 2, v8
	v_cmp_eq_u32_e64 s0, 3, v10
	v_and_b32_e32 v11, 7, v6
	v_cndmask_b32_e64 v2, 0, 1, vcc_lo
	v_cmp_ne_u32_e32 vcc_lo, 0, v4
	v_lshrrev_b32_e32 v6, 2, v6
	v_cmp_lt_i32_e64 s1, 5, v11
	v_cmp_eq_u32_e64 s2, 3, v11
	v_cndmask_b32_e64 v4, 0, 1, vcc_lo
	v_cmp_lt_i32_e32 vcc_lo, 5, v10
	v_lshl_or_b32 v2, v2, 9, 0x7c00
	v_lshl_or_b32 v4, v4, 9, 0x7c00
	s_or_b32 vcc_lo, s0, vcc_lo
	v_add_co_ci_u32_e32 v8, vcc_lo, 0, v8, vcc_lo
	s_or_b32 vcc_lo, s2, s1
	v_add_co_ci_u32_e32 v6, vcc_lo, 0, v6, vcc_lo
	v_cmp_gt_i32_e32 vcc_lo, 31, v7
	v_cndmask_b32_e32 v8, 0x7c00, v8, vcc_lo
	v_cmp_gt_i32_e32 vcc_lo, 31, v9
	v_cndmask_b32_e32 v6, 0x7c00, v6, vcc_lo
	v_cmp_eq_u32_e32 vcc_lo, 0x40f, v7
	v_cndmask_b32_e32 v2, v8, v2, vcc_lo
	v_cmp_eq_u32_e32 vcc_lo, 0x40f, v9
	v_and_or_b32 v2, 0x8000, v3, v2
	v_cndmask_b32_e32 v4, v6, v4, vcc_lo
	v_add_co_u32 v0, vcc_lo, v0, s6
	v_add_co_ci_u32_e32 v1, vcc_lo, s7, v1, vcc_lo
	v_and_or_b32 v3, 0x8000, v5, v4
	v_and_b32_e32 v2, 0xffff, v2
	v_lshl_or_b32 v2, v3, 16, v2
	global_store_dword v[0:1], v2, off
.LBB0_15:
	s_endpgm
	.section	.rodata,"a",@progbits
	.p2align	6, 0x0
	.amdhsa_kernel bluestein_single_back_len273_dim1_half_op_CI_CI
		.amdhsa_group_segment_fixed_size 4368
		.amdhsa_private_segment_fixed_size 0
		.amdhsa_kernarg_size 104
		.amdhsa_user_sgpr_count 6
		.amdhsa_user_sgpr_private_segment_buffer 1
		.amdhsa_user_sgpr_dispatch_ptr 0
		.amdhsa_user_sgpr_queue_ptr 0
		.amdhsa_user_sgpr_kernarg_segment_ptr 1
		.amdhsa_user_sgpr_dispatch_id 0
		.amdhsa_user_sgpr_flat_scratch_init 0
		.amdhsa_user_sgpr_private_segment_size 0
		.amdhsa_wavefront_size32 1
		.amdhsa_uses_dynamic_stack 0
		.amdhsa_system_sgpr_private_segment_wavefront_offset 0
		.amdhsa_system_sgpr_workgroup_id_x 1
		.amdhsa_system_sgpr_workgroup_id_y 0
		.amdhsa_system_sgpr_workgroup_id_z 0
		.amdhsa_system_sgpr_workgroup_info 0
		.amdhsa_system_vgpr_workitem_id 0
		.amdhsa_next_free_vgpr 181
		.amdhsa_next_free_sgpr 18
		.amdhsa_reserve_vcc 1
		.amdhsa_reserve_flat_scratch 0
		.amdhsa_float_round_mode_32 0
		.amdhsa_float_round_mode_16_64 0
		.amdhsa_float_denorm_mode_32 3
		.amdhsa_float_denorm_mode_16_64 3
		.amdhsa_dx10_clamp 1
		.amdhsa_ieee_mode 1
		.amdhsa_fp16_overflow 0
		.amdhsa_workgroup_processor_mode 1
		.amdhsa_memory_ordered 1
		.amdhsa_forward_progress 0
		.amdhsa_shared_vgpr_count 0
		.amdhsa_exception_fp_ieee_invalid_op 0
		.amdhsa_exception_fp_denorm_src 0
		.amdhsa_exception_fp_ieee_div_zero 0
		.amdhsa_exception_fp_ieee_overflow 0
		.amdhsa_exception_fp_ieee_underflow 0
		.amdhsa_exception_fp_ieee_inexact 0
		.amdhsa_exception_int_div_zero 0
	.end_amdhsa_kernel
	.text
.Lfunc_end0:
	.size	bluestein_single_back_len273_dim1_half_op_CI_CI, .Lfunc_end0-bluestein_single_back_len273_dim1_half_op_CI_CI
                                        ; -- End function
	.section	.AMDGPU.csdata,"",@progbits
; Kernel info:
; codeLenInByte = 40152
; NumSgprs: 20
; NumVgprs: 181
; ScratchSize: 0
; MemoryBound: 0
; FloatMode: 240
; IeeeMode: 1
; LDSByteSize: 4368 bytes/workgroup (compile time only)
; SGPRBlocks: 2
; VGPRBlocks: 22
; NumSGPRsForWavesPerEU: 20
; NumVGPRsForWavesPerEU: 181
; Occupancy: 5
; WaveLimiterHint : 1
; COMPUTE_PGM_RSRC2:SCRATCH_EN: 0
; COMPUTE_PGM_RSRC2:USER_SGPR: 6
; COMPUTE_PGM_RSRC2:TRAP_HANDLER: 0
; COMPUTE_PGM_RSRC2:TGID_X_EN: 1
; COMPUTE_PGM_RSRC2:TGID_Y_EN: 0
; COMPUTE_PGM_RSRC2:TGID_Z_EN: 0
; COMPUTE_PGM_RSRC2:TIDIG_COMP_CNT: 0
	.text
	.p2alignl 6, 3214868480
	.fill 48, 4, 3214868480
	.type	__hip_cuid_b008a0f6dcbe4877,@object ; @__hip_cuid_b008a0f6dcbe4877
	.section	.bss,"aw",@nobits
	.globl	__hip_cuid_b008a0f6dcbe4877
__hip_cuid_b008a0f6dcbe4877:
	.byte	0                               ; 0x0
	.size	__hip_cuid_b008a0f6dcbe4877, 1

	.ident	"AMD clang version 19.0.0git (https://github.com/RadeonOpenCompute/llvm-project roc-6.4.0 25133 c7fe45cf4b819c5991fe208aaa96edf142730f1d)"
	.section	".note.GNU-stack","",@progbits
	.addrsig
	.addrsig_sym __hip_cuid_b008a0f6dcbe4877
	.amdgpu_metadata
---
amdhsa.kernels:
  - .args:
      - .actual_access:  read_only
        .address_space:  global
        .offset:         0
        .size:           8
        .value_kind:     global_buffer
      - .actual_access:  read_only
        .address_space:  global
        .offset:         8
        .size:           8
        .value_kind:     global_buffer
      - .actual_access:  read_only
        .address_space:  global
        .offset:         16
        .size:           8
        .value_kind:     global_buffer
      - .actual_access:  read_only
        .address_space:  global
        .offset:         24
        .size:           8
        .value_kind:     global_buffer
      - .actual_access:  read_only
        .address_space:  global
        .offset:         32
        .size:           8
        .value_kind:     global_buffer
      - .offset:         40
        .size:           8
        .value_kind:     by_value
      - .address_space:  global
        .offset:         48
        .size:           8
        .value_kind:     global_buffer
      - .address_space:  global
        .offset:         56
        .size:           8
        .value_kind:     global_buffer
      - .address_space:  global
        .offset:         64
        .size:           8
        .value_kind:     global_buffer
      - .address_space:  global
        .offset:         72
        .size:           8
        .value_kind:     global_buffer
      - .offset:         80
        .size:           4
        .value_kind:     by_value
      - .address_space:  global
        .offset:         88
        .size:           8
        .value_kind:     global_buffer
      - .address_space:  global
        .offset:         96
        .size:           8
        .value_kind:     global_buffer
    .group_segment_fixed_size: 4368
    .kernarg_segment_align: 8
    .kernarg_segment_size: 104
    .language:       OpenCL C
    .language_version:
      - 2
      - 0
    .max_flat_workgroup_size: 52
    .name:           bluestein_single_back_len273_dim1_half_op_CI_CI
    .private_segment_fixed_size: 0
    .sgpr_count:     20
    .sgpr_spill_count: 0
    .symbol:         bluestein_single_back_len273_dim1_half_op_CI_CI.kd
    .uniform_work_group_size: 1
    .uses_dynamic_stack: false
    .vgpr_count:     181
    .vgpr_spill_count: 0
    .wavefront_size: 32
    .workgroup_processor_mode: 1
amdhsa.target:   amdgcn-amd-amdhsa--gfx1030
amdhsa.version:
  - 1
  - 2
...

	.end_amdgpu_metadata
